;; amdgpu-corpus repo=ROCm/Tensile kind=harvested arch=n/a opt=n/a

/******************************************/
/* Function Prefix                        */
/******************************************/



/******************************************/
/* Begin Kernel                           */
/******************************************/

// Component.Signature.SignatureDefault
.amdgcn_target "amdgcn-amd-amdhsa--gfx90a"
.text
.protected Cijk_Ailk_Bljk_DB_GB_MT128x128x16_MI16x16x4x1_SN_1LDSB1_APM1_ABV0_ACED0_AF0EM1_AF1EM1_AMAS3_ASE_ASGT_ASLT_ASEM1_AAC0_BL1_BS1_CLR0_DTVA0_DVO0_ETSP_EPS0_EMLL0_FL0_GLVWA2_GLVWB2_GRPM1_GRVW2_GSU12_GSUASB_GLS1_ISA90a_IU1_K1_KLA_LBSPPA0_LBSPPB0_LPA0_LPB0_LDL1_LRVW1_LWPMn1_LDW0_MAC_MIAV0_MO40_MMFGLC_NTA0_NTB0_NTC0_NTD0_NEPBS1_NLCA1_NLCB1_ONLL1_OPLV0_PK0_PAP0_PGR2_PLR5_SIA3_SS1_SU32_SUM0_SUS128_SCIUI1_SPO1_SRVW0_SSO0_SVW1_SNLL0_TSGRA0_TSGRB0_TT4_64_TLDS0_UMLDSA0_UMLDSB0_USFGROn1_VAW1_VSn1_VW2_VWB1_VFLRP0_WSGRA0_WSGRB0_WG32_8_1_WGM5
.globl Cijk_Ailk_Bljk_DB_GB_MT128x128x16_MI16x16x4x1_SN_1LDSB1_APM1_ABV0_ACED0_AF0EM1_AF1EM1_AMAS3_ASE_ASGT_ASLT_ASEM1_AAC0_BL1_BS1_CLR0_DTVA0_DVO0_ETSP_EPS0_EMLL0_FL0_GLVWA2_GLVWB2_GRPM1_GRVW2_GSU12_GSUASB_GLS1_ISA90a_IU1_K1_KLA_LBSPPA0_LBSPPB0_LPA0_LPB0_LDL1_LRVW1_LWPMn1_LDW0_MAC_MIAV0_MO40_MMFGLC_NTA0_NTB0_NTC0_NTD0_NEPBS1_NLCA1_NLCB1_ONLL1_OPLV0_PK0_PAP0_PGR2_PLR5_SIA3_SS1_SU32_SUM0_SUS128_SCIUI1_SPO1_SRVW0_SSO0_SVW1_SNLL0_TSGRA0_TSGRB0_TT4_64_TLDS0_UMLDSA0_UMLDSB0_USFGROn1_VAW1_VSn1_VW2_VWB1_VFLRP0_WSGRA0_WSGRB0_WG32_8_1_WGM5
.p2align 8
.type Cijk_Ailk_Bljk_DB_GB_MT128x128x16_MI16x16x4x1_SN_1LDSB1_APM1_ABV0_ACED0_AF0EM1_AF1EM1_AMAS3_ASE_ASGT_ASLT_ASEM1_AAC0_BL1_BS1_CLR0_DTVA0_DVO0_ETSP_EPS0_EMLL0_FL0_GLVWA2_GLVWB2_GRPM1_GRVW2_GSU12_GSUASB_GLS1_ISA90a_IU1_K1_KLA_LBSPPA0_LBSPPB0_LPA0_LPB0_LDL1_LRVW1_LWPMn1_LDW0_MAC_MIAV0_MO40_MMFGLC_NTA0_NTB0_NTC0_NTD0_NEPBS1_NLCA1_NLCB1_ONLL1_OPLV0_PK0_PAP0_PGR2_PLR5_SIA3_SS1_SU32_SUM0_SUS128_SCIUI1_SPO1_SRVW0_SSO0_SVW1_SNLL0_TSGRA0_TSGRB0_TT4_64_TLDS0_UMLDSA0_UMLDSB0_USFGROn1_VAW1_VSn1_VW2_VWB1_VFLRP0_WSGRA0_WSGRB0_WG32_8_1_WGM5,@function
.section .rodata,#alloc
.p2align 6
.amdhsa_kernel Cijk_Ailk_Bljk_DB_GB_MT128x128x16_MI16x16x4x1_SN_1LDSB1_APM1_ABV0_ACED0_AF0EM1_AF1EM1_AMAS3_ASE_ASGT_ASLT_ASEM1_AAC0_BL1_BS1_CLR0_DTVA0_DVO0_ETSP_EPS0_EMLL0_FL0_GLVWA2_GLVWB2_GRPM1_GRVW2_GSU12_GSUASB_GLS1_ISA90a_IU1_K1_KLA_LBSPPA0_LBSPPB0_LPA0_LPB0_LDL1_LRVW1_LWPMn1_LDW0_MAC_MIAV0_MO40_MMFGLC_NTA0_NTB0_NTC0_NTD0_NEPBS1_NLCA1_NLCB1_ONLL1_OPLV0_PK0_PAP0_PGR2_PLR5_SIA3_SS1_SU32_SUM0_SUS128_SCIUI1_SPO1_SRVW0_SSO0_SVW1_SNLL0_TSGRA0_TSGRB0_TT4_64_TLDS0_UMLDSA0_UMLDSB0_USFGROn1_VAW1_VSn1_VW2_VWB1_VFLRP0_WSGRA0_WSGRB0_WG32_8_1_WGM5
  .amdhsa_user_sgpr_kernarg_segment_ptr 1
  .amdhsa_user_sgpr_kernarg_preload_offset 0
  .amdhsa_user_sgpr_kernarg_preload_length 0
  .amdhsa_user_sgpr_count 2
  .amdhsa_accum_offset 128 // accvgpr offset
  .amdhsa_next_free_vgpr 256 // vgprs
  .amdhsa_next_free_sgpr 72 // sgprs
  .amdhsa_group_segment_fixed_size 32768 // lds bytes
  .amdhsa_private_segment_fixed_size 0
  .amdhsa_system_sgpr_workgroup_id_x 1
  .amdhsa_system_sgpr_workgroup_id_y 1
  .amdhsa_system_sgpr_workgroup_id_z 1
  .amdhsa_system_vgpr_workitem_id 0
  .amdhsa_float_denorm_mode_32 3
  .amdhsa_float_denorm_mode_16_64 3
.end_amdhsa_kernel
.text

/******************************************/
/* Optimizations and Config:              */
/******************************************/
/* ThreadTile= 16 x 4 */
/* SubGroup= 8 x 32 */
/* VectorWidthA=2 */
/* VectorWidthB=1 */
/* GlobalLoadVectorWidthA=2, GlobalLoadVectorWidthB=2 */
/* DirectToLdsA=False */
/* DirectToLdsB=False */
/* UseSgprForGRO=False */
.amdgpu_metadata
---
amdhsa.version:
  - 1
  - 1
amdhsa.target: amdgcn-amd-amdhsa--gfx90a
amdhsa.kernels:
  - .name: Cijk_Ailk_Bljk_DB_GB_MT128x128x16_MI16x16x4x1_SN_1LDSB1_APM1_ABV0_ACED0_AF0EM1_AF1EM1_AMAS3_ASE_ASGT_ASLT_ASEM1_AAC0_BL1_BS1_CLR0_DTVA0_DVO0_ETSP_EPS0_EMLL0_FL0_GLVWA2_GLVWB2_GRPM1_GRVW2_GSU12_GSUASB_GLS1_ISA90a_IU1_K1_KLA_LBSPPA0_LBSPPB0_LPA0_LPB0_LDL1_LRVW1_LWPMn1_LDW0_MAC_MIAV0_MO40_MMFGLC_NTA0_NTB0_NTC0_NTD0_NEPBS1_NLCA1_NLCB1_ONLL1_OPLV0_PK0_PAP0_PGR2_PLR5_SIA3_SS1_SU32_SUM0_SUS128_SCIUI1_SPO1_SRVW0_SSO0_SVW1_SNLL0_TSGRA0_TSGRB0_TT4_64_TLDS0_UMLDSA0_UMLDSB0_USFGROn1_VAW1_VSn1_VW2_VWB1_VFLRP0_WSGRA0_WSGRB0_WG32_8_1_WGM5
    .symbol: 'Cijk_Ailk_Bljk_DB_GB_MT128x128x16_MI16x16x4x1_SN_1LDSB1_APM1_ABV0_ACED0_AF0EM1_AF1EM1_AMAS3_ASE_ASGT_ASLT_ASEM1_AAC0_BL1_BS1_CLR0_DTVA0_DVO0_ETSP_EPS0_EMLL0_FL0_GLVWA2_GLVWB2_GRPM1_GRVW2_GSU12_GSUASB_GLS1_ISA90a_IU1_K1_KLA_LBSPPA0_LBSPPB0_LPA0_LPB0_LDL1_LRVW1_LWPMn1_LDW0_MAC_MIAV0_MO40_MMFGLC_NTA0_NTB0_NTC0_NTD0_NEPBS1_NLCA1_NLCB1_ONLL1_OPLV0_PK0_PAP0_PGR2_PLR5_SIA3_SS1_SU32_SUM0_SUS128_SCIUI1_SPO1_SRVW0_SSO0_SVW1_SNLL0_TSGRA0_TSGRB0_TT4_64_TLDS0_UMLDSA0_UMLDSB0_USFGROn1_VAW1_VSn1_VW2_VWB1_VFLRP0_WSGRA0_WSGRB0_WG32_8_1_WGM5.kd'
    .language:                   OpenCL C
    .language_version:
      - 2
      - 0
    .args:
      - .name:            Tensor2dSizeA
        .size:            8
        .offset:          0
        .value_kind:      by_value
        .value_type:      u64
      - .name:            Tensor2dSizeB
        .size:            8
        .offset:          8
        .value_kind:      by_value
        .value_type:      u64
      - .name:            AddressD
        .size:            8
        .offset:          16
        .value_kind:      by_value
        .value_type:      u64
      - .name:            AddressC
        .size:            8
        .offset:          24
        .value_kind:      by_value
        .value_type:      u64
      - .name:            AddressA
        .size:            8
        .offset:          32
        .value_kind:      by_value
        .value_type:      u64
      - .name:            AddressB
        .size:            8
        .offset:          40
        .value_kind:      by_value
        .value_type:      u64
      - .name:            OffsetD
        .size:            8
        .offset:          48
        .value_kind:      by_value
        .value_type:      u64
      - .name:            OffsetC
        .size:            8
        .offset:          56
        .value_kind:      by_value
        .value_type:      u64
      - .name:            OffsetA
        .size:            8
        .offset:          64
        .value_kind:      by_value
        .value_type:      u64
      - .name:            OffsetB
        .size:            8
        .offset:          72
        .value_kind:      by_value
        .value_type:      u64
      - .name:            Alpha
        .size:            8
        .offset:          80
        .value_kind:      by_value
        .value_type:      u64
      - .name:            Beta
        .size:            8
        .offset:          88
        .value_kind:      by_value
        .value_type:      u64
      - .name:            StridesD
        .size:            8
        .offset:          96
        .value_kind:      by_value
        .value_type:      u64
      - .name:            StridesC
        .size:            8
        .offset:          104
        .value_kind:      by_value
        .value_type:      u64
      - .name:            StridesA
        .size:            8
        .offset:          112
        .value_kind:      by_value
        .value_type:      u64
      - .name:            StridesB
        .size:            8
        .offset:          120
        .value_kind:      by_value
        .value_type:      u64
      - .name:            SizesFree
        .size:            12
        .offset:          128
        .value_kind:      by_value
        .value_type:      u96
      - .name:            SizesSum
        .size:            4
        .offset:          140
        .value_kind:      by_value
        .value_type:      u32
      - .name:            OrigStaggerUIter
        .size:            4
        .offset:          144
        .value_kind:      by_value
        .value_type:      u32
      - .name:            NumWorkGroups0
        .size:            4
        .offset:          148
        .value_kind:      by_value
        .value_type:      u32
      - .name:            NumWorkGroups1
        .size:            4
        .offset:          152
        .value_kind:      by_value
        .value_type:      u32
      - .name:            NumFullBlocks
        .size:            4
        .offset:          156
        .value_kind:      by_value
        .value_type:      u32
      - .name:            WgmRemainder1
        .size:            4
        .offset:          160
        .value_kind:      by_value
        .value_type:      u32
      - .name:            MagicNumberWgmRemainder1
        .size:            4
        .offset:          164
        .value_kind:      by_value
        .value_type:      u32
    .group_segment_fixed_size:   32768
    .kernarg_segment_align:      8
    .kernarg_segment_size:       168
    .max_flat_workgroup_size:    256
    .private_segment_fixed_size: 0
    .sgpr_count:                 72
    .sgpr_spill_count:           0
    .vgpr_count:                 128
    .vgpr_spill_count:           0
    .wavefront_size:             64
...
.end_amdgpu_metadata
Cijk_Ailk_Bljk_DB_GB_MT128x128x16_MI16x16x4x1_SN_1LDSB1_APM1_ABV0_ACED0_AF0EM1_AF1EM1_AMAS3_ASE_ASGT_ASLT_ASEM1_AAC0_BL1_BS1_CLR0_DTVA0_DVO0_ETSP_EPS0_EMLL0_FL0_GLVWA2_GLVWB2_GRPM1_GRVW2_GSU12_GSUASB_GLS1_ISA90a_IU1_K1_KLA_LBSPPA0_LBSPPB0_LPA0_LPB0_LDL1_LRVW1_LWPMn1_LDW0_MAC_MIAV0_MO40_MMFGLC_NTA0_NTB0_NTC0_NTD0_NEPBS1_NLCA1_NLCB1_ONLL1_OPLV0_PK0_PAP0_PGR2_PLR5_SIA3_SS1_SU32_SUM0_SUS128_SCIUI1_SPO1_SRVW0_SSO0_SVW1_SNLL0_TSGRA0_TSGRB0_TT4_64_TLDS0_UMLDSA0_UMLDSB0_USFGROn1_VAW1_VSn1_VW2_VWB1_VFLRP0_WSGRA0_WSGRB0_WG32_8_1_WGM5:

/******************************************/
/* Asm syntax workarounds                 */
/******************************************/
.macro _v_add_co_u32 dst:req, cc:req, src0:req, src1:req, dpp=
   v_add_co_u32 \dst, \cc, \src0, \src1 \dpp
.endm

.macro _v_add_u32 dst:req, src0:req, src1:req, dpp=
   v_add_u32 \dst, \src0, \src1 \dpp
.endm

.macro _v_add_i32 dst:req, src0:req, src1:req, dpp=
   v_add_i32 \dst, \src0, \src1 \dpp
.endm

.macro _v_addc_co_u32 dst:req, ccOut:req, src0:req, ccIn:req, src1:req, dpp=
   v_addc_co_u32 \dst, \ccOut, \src0, \ccIn, \src1 \dpp
.endm

.macro _v_sub_co_u32 dst:req, cc:req, src0:req, src1:req, dpp=
   v_sub_co_u32 \dst, \cc, \src0, \src1 \dpp
.endm

.macro _v_sub_u32 dst:req, src0:req, src1:req, dpp=
   v_sub_u32 \dst, \src0, \src1 \dpp
.endm

.macro _v_sub_i32 dst:req, src0:req, src1:req, dpp=
   v_sub_i32 \dst, \src0, \src1 \dpp
.endm

.macro _v_add_lshl_u32 dst:req, src0:req, src1:req, shiftCnt:req
    v_add_lshl_u32 \dst, \src0, \src1, \shiftCnt
.endm

.macro _v_lshl_add_u32 dst:req, src0:req, src1:req, shiftCnt:req
    v_lshl_add_u32 \dst, \src0, \src1, \shiftCnt
.endm

.macro _v_lshl_or_b32 dst:req, src0:req, shiftCnt:req, src1:req
    v_lshl_or_b32 \dst, \src0, \shiftCnt, \src1
.endm

.macro _v_dot2acc_f32_f16 dst, src0, src1
v_dot2c_f32_f16 \dst, \src0, \src1
.endm

.macro _v_cmpx_lt_i16 dst, src0, src1=
   v_cmpx_lt_i16 \dst, \src0, \src1 
.endm

.macro _v_cmpx_lt_i32 dst, src0, src1=
   v_cmpx_lt_i32 \dst, \src0, \src1 
.endm

.macro _v_cmpx_lt_i64 dst, src0, src1=
   v_cmpx_lt_i64 \dst, \src0, \src1 
.endm

.macro _v_cmpx_lt_u16 dst, src0, src1=
   v_cmpx_lt_u16 \dst, \src0, \src1 
.endm

.macro _v_cmpx_lt_u32 dst, src0, src1=
   v_cmpx_lt_u32 \dst, \src0, \src1 
.endm

.macro _v_cmpx_lt_u64 dst, src0, src1=
   v_cmpx_lt_u64 \dst, \src0, \src1 
.endm

.macro _v_cmpx_eq_i16 dst, src0, src1=
   v_cmpx_eq_i16 \dst, \src0, \src1 
.endm

.macro _v_cmpx_eq_i32 dst, src0, src1=
   v_cmpx_eq_i32 \dst, \src0, \src1 
.endm

.macro _v_cmpx_eq_i64 dst, src0, src1=
   v_cmpx_eq_i64 \dst, \src0, \src1 
.endm

.macro _v_cmpx_eq_u16 dst, src0, src1=
   v_cmpx_eq_u16 \dst, \src0, \src1 
.endm

.macro _v_cmpx_eq_u32 dst, src0, src1=
   v_cmpx_eq_u32 \dst, \src0, \src1 
.endm

.macro _v_cmpx_eq_u64 dst, src0, src1=
   v_cmpx_eq_u64 \dst, \src0, \src1 
.endm

.macro _v_cmpx_le_i16 dst, src0, src1=
   v_cmpx_le_i16 \dst, \src0, \src1 
.endm

.macro _v_cmpx_le_i32 dst, src0, src1=
   v_cmpx_le_i32 \dst, \src0, \src1 
.endm

.macro _v_cmpx_le_i64 dst, src0, src1=
   v_cmpx_le_i64 \dst, \src0, \src1 
.endm

.macro _v_cmpx_le_u16 dst, src0, src1=
   v_cmpx_le_u16 \dst, \src0, \src1 
.endm

.macro _v_cmpx_le_u32 dst, src0, src1=
   v_cmpx_le_u32 \dst, \src0, \src1 
.endm

.macro _v_cmpx_le_u64 dst, src0, src1=
   v_cmpx_le_u64 \dst, \src0, \src1 
.endm

.macro _v_cmpx_gt_i16 dst, src0, src1=
   v_cmpx_gt_i16 \dst, \src0, \src1 
.endm

.macro _v_cmpx_gt_i32 dst, src0, src1=
   v_cmpx_gt_i32 \dst, \src0, \src1 
.endm

.macro _v_cmpx_gt_i64 dst, src0, src1=
   v_cmpx_gt_i64 \dst, \src0, \src1 
.endm

.macro _v_cmpx_gt_u16 dst, src0, src1=
   v_cmpx_gt_u16 \dst, \src0, \src1 
.endm

.macro _v_cmpx_gt_u32 dst, src0, src1=
   v_cmpx_gt_u32 \dst, \src0, \src1 
.endm

.macro _v_cmpx_gt_u64 dst, src0, src1=
   v_cmpx_gt_u64 \dst, \src0, \src1 
.endm

.macro _v_cmpx_ne_i16 dst, src0, src1=
   v_cmpx_ne_i16 \dst, \src0, \src1 
.endm

.macro _v_cmpx_ne_i32 dst, src0, src1=
   v_cmpx_ne_i32 \dst, \src0, \src1 
.endm

.macro _v_cmpx_ne_i64 dst, src0, src1=
   v_cmpx_ne_i64 \dst, \src0, \src1 
.endm

.macro _v_cmpx_ne_u16 dst, src0, src1=
   v_cmpx_ne_u16 \dst, \src0, \src1 
.endm

.macro _v_cmpx_ne_u32 dst, src0, src1=
   v_cmpx_ne_u32 \dst, \src0, \src1 
.endm

.macro _v_cmpx_ne_u64 dst, src0, src1=
   v_cmpx_ne_u64 \dst, \src0, \src1 
.endm

.macro _v_cmpx_lg_i16 dst, src0, src1=
   v_cmpx_lg_i16 \dst, \src0, \src1 
.endm

.macro _v_cmpx_lg_i32 dst, src0, src1=
   v_cmpx_lg_i32 \dst, \src0, \src1 
.endm

.macro _v_cmpx_lg_i64 dst, src0, src1=
   v_cmpx_lg_i64 \dst, \src0, \src1 
.endm

.macro _v_cmpx_lg_u16 dst, src0, src1=
   v_cmpx_lg_u16 \dst, \src0, \src1 
.endm

.macro _v_cmpx_lg_u32 dst, src0, src1=
   v_cmpx_lg_u32 \dst, \src0, \src1 
.endm

.macro _v_cmpx_lg_u64 dst, src0, src1=
   v_cmpx_lg_u64 \dst, \src0, \src1 
.endm

.macro _v_cmpx_ge_i16 dst, src0, src1=
   v_cmpx_ge_i16 \dst, \src0, \src1 
.endm

.macro _v_cmpx_ge_i32 dst, src0, src1=
   v_cmpx_ge_i32 \dst, \src0, \src1 
.endm

.macro _v_cmpx_ge_i64 dst, src0, src1=
   v_cmpx_ge_i64 \dst, \src0, \src1 
.endm

.macro _v_cmpx_ge_u16 dst, src0, src1=
   v_cmpx_ge_u16 \dst, \src0, \src1 
.endm

.macro _v_cmpx_ge_u32 dst, src0, src1=
   v_cmpx_ge_u32 \dst, \src0, \src1 
.endm

.macro _v_cmpx_ge_u64 dst, src0, src1=
   v_cmpx_ge_u64 \dst, \src0, \src1 
.endm

.macro _v_cmpx_o_i16 dst, src0, src1=
   v_cmpx_o_i16 \dst, \src0, \src1 
.endm

.macro _v_cmpx_o_i32 dst, src0, src1=
   v_cmpx_o_i32 \dst, \src0, \src1 
.endm

.macro _v_cmpx_o_i64 dst, src0, src1=
   v_cmpx_o_i64 \dst, \src0, \src1 
.endm

.macro _v_cmpx_o_u16 dst, src0, src1=
   v_cmpx_o_u16 \dst, \src0, \src1 
.endm

.macro _v_cmpx_o_u32 dst, src0, src1=
   v_cmpx_o_u32 \dst, \src0, \src1 
.endm

.macro _v_cmpx_o_u64 dst, src0, src1=
   v_cmpx_o_u64 \dst, \src0, \src1 
.endm

.macro _v_cmpx_u_i16 dst, src0, src1=
   v_cmpx_u_i16 \dst, \src0, \src1 
.endm

.macro _v_cmpx_u_i32 dst, src0, src1=
   v_cmpx_u_i32 \dst, \src0, \src1 
.endm

.macro _v_cmpx_u_i64 dst, src0, src1=
   v_cmpx_u_i64 \dst, \src0, \src1 
.endm

.macro _v_cmpx_u_u16 dst, src0, src1=
   v_cmpx_u_u16 \dst, \src0, \src1 
.endm

.macro _v_cmpx_u_u32 dst, src0, src1=
   v_cmpx_u_u32 \dst, \src0, \src1 
.endm

.macro _v_cmpx_u_u64 dst, src0, src1=
   v_cmpx_u_u64 \dst, \src0, \src1 
.endm
.macro _v_mac_f32 c:req, a:req, b:req
    v_mac_f32 \c, \a, \b
.endmacro

/* scale global load macros */
.macro _s_load_b32 dst base offset
    s_load_dword \dst \base \offset
.endm

.macro _s_load_b64 dst base offset
    s_load_dwordx2 \dst \base \offset
.endm

.macro _s_load_b128 dst base offset
    s_load_dwordx4 \dst \base \offset
.endm

.macro _s_load_b256 dst base offset
    s_load_dwordx8 \dst \base \offset
.endm

.macro _s_load_b512 dst base offset
    s_load_dwordx16 \dst \base \offset
.endm


/* ds operation macros */
.macro _ds_load_u8 dst src offset
    ds_read_u8 \dst \src \offset
.endm

.macro _ds_load_u8_d16_hi dst src offset
    ds_read_u8_d16_hi \dst \src \offset
.endm

.macro _ds_load_u16 dst src offset
    ds_read_u16 \dst \src \offset
.endm

.macro _ds_load_u16_d16_hi dst src offset
    ds_read_u16_d16_hi \dst \src \offset
.endm

.macro _ds_load_b32 dst src offset
    ds_read_b32 \dst \src \offset
.endm

.macro _ds_load_b64 dst src offset
    ds_read_b64 \dst \src \offset
.endm

.macro _ds_load_b128 dst src offset
    ds_read_b128 \dst \src \offset
.endm

.macro _ds_store_b8 dst src offset
    ds_write_b8 \dst \src \offset
.endm

.macro _ds_store_b8_d16_hi dst src offset
    ds_write_b8_d16_hi \dst \src \offset
.endm

.macro _ds_store_b16 dst src offset
    ds_write_b16 \dst \src \offset
.endm

.macro _ds_store_b16_d16_hi dst src offset
    ds_write_b16_d16_hi \dst \src \offset
.endm

.macro _ds_store_b32 dst src offset
    ds_write_b32 \dst \src \offset
.endm

.macro _ds_store_b64 dst src offset
    ds_write_b64 \dst \src \offset
.endm

.macro _ds_store_b128 dst src offset
    ds_write_b128 \dst \src \offset
.endm

.macro _ds_load2_b32 dst src offset1 offset2
    ds_read2_b32 \dst \src \offset1 \offset2
.endm

.macro _ds_load2_b64 dst src offset1 offset2
    ds_read2_b64 \dst \src \offset1 \offset2
.endm

.macro _ds_store2_b32 dst src offset1 offset2
    ds_write2_b32 \dst \src \offset1 \offset2
.endm

.macro _ds_store2_b64 dst src offset1 offset2
    ds_write2_b64 \dst \src \offset1 \offset2
.endm


/* buffer memory operation macros */
.macro _buffer_load_b32 dst voffset base soffset offen ioffset md0 md1 md2
    buffer_load_dword \dst \voffset \base \soffset \offen \ioffset \md0 \md1 \md2
.endm

.macro _buffer_load_b64 dst voffset base soffset offen ioffset md0 md1 md2
    buffer_load_dwordx2 \dst \voffset \base \soffset \offen \ioffset \md0 \md1 \md2
.endm

.macro _buffer_load_b96 dst voffset base soffset offen ioffset md0 md1 md2
    buffer_load_dwordx3 \dst \voffset \base \soffset \offen \ioffset \md0 \md1 \md2
.endm

.macro _buffer_load_b128 dst voffset base soffset offen ioffset md0 md1 md2
    buffer_load_dwordx4 \dst \voffset \base \soffset \offen \ioffset \md0 \md1 \md2
.endm

.macro _buffer_load_d16_b16 dst voffset base soffset offen ioffset md0 md1 md2
    buffer_load_short_d16 \dst \voffset \base \soffset \offen \ioffset \md0 \md1 \md2
.endm

.macro _buffer_load_d16_hi_b16 dst voffset base soffset offen ioffset md0 md1 md2
    buffer_load_short_d16_hi \dst \voffset \base \soffset \offen \ioffset \md0 \md1 \md2
.endm

.macro _buffer_load_d16_u8 dst voffset base soffset offen ioffset md0 md1 md2
    buffer_load_ubyte_d16 \dst \voffset \base \soffset \offen \ioffset \md0 \md1 \md2
.endm

.macro _buffer_load_d16_hi_u8 dst voffset base soffset offen ioffset md0 md1 md2
    buffer_load_ubyte_d16_hi \dst \voffset \base \soffset \offen \ioffset \md0 \md1 \md2
.endm

.macro _buffer_load_u16 dst voffset base soffset offen ioffset md0 md1 md2
    buffer_load_ushort \dst \voffset \base \soffset \offen \ioffset \md0 \md1 \md2
.endm

.macro _buffer_load_b32_dtl voffset base soffset offen ioffset md0 md1 md2
    buffer_load_dword \voffset \base \soffset \offen \ioffset \md0 \md1 \md2
.endm

.macro _buffer_load_b64_dtl voffset base soffset offen ioffset md0 md1 md2
    buffer_load_dwordx2 \voffset \base \soffset \offen \ioffset \md0 \md1 \md2
.endm

.macro _buffer_load_b128_dtl voffset base soffset offen ioffset md0 md1 md2
    buffer_load_dwordx4 \voffset \base \soffset \offen \ioffset \md0 \md1 \md2
.endm

.macro _buffer_load_u16_dtl voffset base soffset offen ioffset md0 md1 md2
    buffer_load_ushort \voffset \base \soffset \offen \ioffset \md0 \md1 \md2
.endm

.macro _buffer_store_b32 src voffset base soffset offen ioffset md0 md1 md2
    buffer_store_dword \src \voffset \base \soffset \offen \ioffset \md0 \md1 \md2
.endm

.macro _buffer_store_b64 src voffset base soffset offen ioffset md0 md1 md2
    buffer_store_dwordx2 \src \voffset \base \soffset \offen \ioffset \md0 \md1 \md2
.endm

.macro _buffer_store_b96 src voffset base soffset offen ioffset md0 md1 md2
    buffer_store_dwordx3 \src \voffset \base \soffset \offen \ioffset \md0 \md1 \md2
.endm

.macro _buffer_store_b128 src voffset base soffset offen ioffset md0 md1 md2
    buffer_store_dwordx4 \src \voffset \base \soffset \offen \ioffset \md0 \md1 \md2
.endm

.macro _buffer_store_b16 src voffset base soffset offen ioffset md0 md1 md2
    buffer_store_short \src \voffset \base \soffset \offen \ioffset \md0 \md1 \md2
.endm

.macro _buffer_store_d16_hi_b16 src voffset base soffset offen ioffset md0 md1 md2
    buffer_store_short_d16_hi \src \voffset \base \soffset \offen \ioffset \md0 \md1 \md2
.endm

.macro _buffer_store_b8 src voffset base soffset offen ioffset md0 md1 md2
    buffer_store_byte \src \voffset \base \soffset \offen \ioffset \md0 \md1 \md2
.endm

.macro _buffer_store_d16_hi_b8 src voffset base soffset offen ioffset md0 md1 md2
    buffer_store_byte_d16_hi \src \voffset \base \soffset \offen \ioffset \md0 \md1 \md2
.endm

.macro _buffer_atomic_cmpswap_b32 dst voffset base soffset offen ioffset md0 md1 md2
    buffer_atomic_cmpswap \dst \voffset \base \soffset \offen \ioffset \md0 \md1 \md2
.endm

.macro _buffer_atomic_cmpswap_b64 dst voffset base soffset offen ioffset md0 md1 md2
    buffer_atomic_cmpswap_x2 \dst \voffset \base \soffset \offen \ioffset \md0 \md1 \md2
.endm


/* buffer memory operation macros */
.macro _global_load_b32 dst base src ioffset md0 md1 md2
    global_load_dword \dst \base \src \ioffset \md0 \md1 \md2
.endm

.macro _global_load_b64 dst base src ioffset md0 md1 md2
    global_load_dwordx2 \dst \base \src \ioffset \md0 \md1 \md2
.endm

.macro _global_load_b96 dst base src ioffset md0 md1 md2
    global_load_dwordx3 \dst \base \src \ioffset \md0 \md1 \md2
.endm

.macro _global_load_b128 dst base src ioffset md0 md1 md2
    global_load_dwordx4 \dst \base \src \ioffset \md0 \md1 \md2
.endm

.macro _global_load_d16_b16 dst base src ioffset md0 md1 md2
    global_load_short_d16 \dst \base \src \ioffset \md0 \md1 \md2
.endm

.macro _global_load_d16_hi_b16 dst base src ioffset md0 md1 md2
    global_load_short_d16_hi \dst \base \src \ioffset \md0 \md1 \md2
.endm

.macro _global_load_d16_u8 dst base src ioffset md0 md1 md2
    global_load_ubyte_d16 \dst \base \src \ioffset \md0 \md1 \md2
.endm

.macro _global_load_d16_hi_u8 dst base src ioffset md0 md1 md2
    global_load_ubyte_d16_hi \dst \base \src \ioffset \md0 \md1 \md2
.endm

.macro _global_load_u16 dst base src ioffset md0 md1 md2
    global_load_ushort \dst \base \src \ioffset \md0 \md1 \md2
.endm

.macro _global_store_b32 base src src2 md0 md1 md2
    global_store_dword \base \src \src2 \md0 \md1 \md2
.endm

.macro _global_store_b64 base src src2 md0 md1 md2
    global_store_dwordx2 \base \src \src2 \md0 \md1 \md2
.endm

.macro _global_store_b96 base src src2 md0 md1 md2
    global_store_dwordx3 \base \src \src2 \md0 \md1 \md2
.endm

.macro _global_store_b128 base src src2 md0 md1 md2
    global_store_dwordx4 \base \src \src2 \md0 \md1 \md2
.endm

.macro _global_store_d16_b16 base src src2 md0 md1 md2
    global_store_short \base \src \src2 \md0 \md1 \md2
.endm

.macro _global_store_d16_hi_b16 base src src2 md0 md1 md2
    global_store_short_d16_hi \base \src \src2 \md0 \md1 \md2
.endm

.macro _global_store_d16_u8 base src src2 md0 md1 md2
    global_store_ubyte_d16 \base \src \src2 \md0 \md1 \md2
.endm

.macro _global_store_d16_hi_u8 base src src2 md0 md1 md2
    global_store_ubyte_d16_hi \base \src \src2 \md0 \md1 \md2
.endm

.macro _global_store_u16 base src src2 md0 md1 md2
    global_store_ushort \base \src \src2 \md0 \md1 \md2
.endm

.macro _global_atomic_cmpswap_b32 tmp base data src ioffset md
    global_atomic_cmpswap \tmp \base \data \src \ioffset \md
.endm

.macro _global_atomic_cmpswap_b64 tmp base data src ioffset md
    global_atomic_cmpswap_x2 \tmp \base \data \src \ioffset \md
.endm


/******************************************/
/* Magic div and mod functions            */
/******************************************/
.macro V_MAGIC_DIV dstIdx:req, dividend:req, magicNumber:req, magicShift:req, magicA:req
    v_mul_hi_u32 v[\dstIdx+1], \dividend, \magicNumber
    v_mul_lo_u32 v[\dstIdx+0], \dividend, \magicA
    _v_add_u32 v[\dstIdx+0], v[\dstIdx+0], v[\dstIdx+1]
    v_lshrrev_b32 v[\dstIdx+0], \magicShift, v[\dstIdx+0]
.endm

/******************************************/
/* VGPR Assignments                       */
/******************************************/
/* ValuC range: [0-0), serializedStore enabled */
.set vgprValuC, 0
/* ValuA/B   Xn=PLR buffer idx,  In=InnerUnroll idx */
.set vgprValuA_X0_I0, 0
.set vgprValuA_X1_I0, 8
.set vgprValuA_X2_I0, 16
.set vgprValuA_X3_I0, 24
.set vgprG2LA, 74
.set vgprValuB_X0_I0, 32
.set vgprValuB_X1_I0, 40
.set vgprValuB_X2_I0, 48
.set vgprValuB_X3_I0, 56
.set vgprG2LB, 90
.set vgprLocalWriteAddrA, 64
.set vgprLocalWriteAddrB, 65
.set vgprGlobalReadOffsetA, 66
.set vgprGlobalReadOffsetB, 70
.set vgprLocalReadAddrA, 106
.set vgprLocalReadAddrB, 107
.set vgprSerial, 108
/* Num VGPR=128 */
/* Num AccVGPR=128 */

/******************************************/
/* SGPR Assignments                       */
/******************************************/
.set sgprKernArgAddress, 0 // (2)
.set sgprWorkGroup0, 2 // (1)
.set sgprWorkGroup1, 3 // (1)
.set sgprWorkGroup2, 4 // (1)
.set sgprGSUSumIdx, 5 // (2)
.set sgprLoopCounterL, 7 // (1)
.set sgprOrigLoopCounter, 8 // (1)
.set sgprSrdA, 12 // (4)
.set sgprSrdB, 16 // (4)
.set sgprSrdD, 20 // (4)
.set sgprSrdC, 24 // (4)
.set sgprTensor2dSizeA, 28 // (2)
.set sgprTensor2dSizeB, 30 // (2)
.set sgprAddressD, 32 // (2)
.set sgprAddressC, 34 // (2)
.set sgprAddressA, 36 // (2)
.set sgprAddressB, 38 // (2)
.set sgprOffsetD, 40 // (2)
.set sgprOffsetC, 42 // (2)
.set sgprOffsetA, 44 // (2)
.set sgprOffsetB, 46 // (2)
.set sgprAlpha, 48 // (2)
.set sgprBeta, 50 // (2)
.set sgprStridesD, 52 // (2)
.set sgprStridesC, 54 // (2)
.set sgprStridesA, 56 // (2)
.set sgprStridesB, 58 // (2)
.set sgprSizesFree, 60 // (3)
.set sgprSizesSum, 63 // (1)
.set sgprOrigStaggerUIter, 64 // (1)
.set sgprNumWorkGroups0, 65 // (1)
.set sgprNumWorkGroups1, 66 // (1)
.set sgprNumFullBlocks, 67 // (1)
.set sgprWgmRemainder1, 68 // (1)
.set sgprMagicNumberWgmRemainder1, 69 // (1)
.set sgprShadowLimitA, 32 // (2)
.set sgprShadowLimitB, 34 // (2)
.set sgprStaggerUIter, 9 // (1)
.set sgprWrapUA, 36 // (2)
.set sgprWrapUB, 38 // (2)
.set sgprGlobalReadIncsA, 40 // (1)
.set sgprGlobalReadIncsB, 41 // (1)
/* max SGPR=72 */

/* Size Assignments */
.set sgprSizeI, sgprSizesFree+0
.set sgprSizeJ, sgprSizesFree+1
.set sgprSizeK, sgprSizesFree+2
.set sgprSizeL, sgprSizesSum+0

/* Stride Assignments */
.set constStrideD0I, 1
.set sgprStrideD1J, sgprStridesD+0
.set sgprStrideDK, sgprStridesD+1
.set constStrideC0I, 1
.set sgprStrideC1J, sgprStridesC+0
.set sgprStrideCK, sgprStridesC+1
.set constStrideA0I, 1
.set sgprStrideAL, sgprStridesA+0
.set sgprStrideAK, sgprStridesA+1
.set constStrideBL, 1
.set sgprStrideB1J, sgprStridesB+0
.set sgprStrideBK, sgprStridesB+1

.set MT0, 128
.set MT1, 128
.set DepthU, 16
.set GSU, 12
.set BpeA, 8
.set BpeALog2, 3
.set BpeB, 8
.set BpeBLog2, 3
/* Number of elements to shift-left SRD */
.set SrdShiftLeftA, 2
.set SrdShiftLeftB, 2
/* 2GB limit - set offsets to -1 to exceed this and clamp */
.set BufferLimitA, 0xffffffff
.set BufferLimitB, 0xffffffff
.set BufferOOB, 0xfffff000

/******************************************/
/* Bits 127:96 of SRD.                    */
/* hex: 0x00020000                        */
/* dst_sel_x (3b): 0                      */
/* dst_sel_y (3b): 0                      */
/* dst_sel_z (3b): 0                      */
/* dst_sel_w (3b): 0                      */
/* num_format (3b): 0                     */
/* data_format (4b): 4                    */
/* user_vm_enable (1b): 0                 */
/* user_vm_mode (1b): 0                   */
/* index_stride (2b): 0                   */
/* add_tid_enable (1b): 0                 */
/* _unusedA (3b): 0                       */
/* nv (1b): 0                             */
/* _unusedB (2b): 0                       */
/* type (2b): 0                           */
/******************************************/
.set Srd127_96, 0x00020000

/* Global Offset A */
.macro GLOBAL_OFFSET_A vgprAddr:req vgprOffset0I:req vgprOffsetL:req vgprTmp:req
v_mul_lo_u32 v[\vgprTmp+0], s[sgprStrideAL], v[\vgprOffsetL] // mul d1 lower
_v_add_co_u32 v[\vgprAddr+0], vcc, v[\vgprOffset0I], v[\vgprTmp+0] // accumulate K lower
_v_add_u32 v[\vgprAddr+0], 0x2, v[\vgprAddr+0]     // add prepad for pointer shift
v_lshlrev_b32 v[\vgprAddr+0], 0x3, v[\vgprAddr+0]  // offset *= bytes/element
.endm

/* Global Offset B */
.macro GLOBAL_OFFSET_B vgprAddr:req vgprOffsetL:req vgprOffset1J:req vgprTmp:req
v_mul_lo_u32 v[\vgprTmp+0], s[sgprStrideB1J], v[\vgprOffset1J] // mul d1 lower
_v_add_co_u32 v[\vgprAddr+0], vcc, v[\vgprOffsetL], v[\vgprTmp+0] // accumulate K lower
_v_add_u32 v[\vgprAddr+0], 0x2, v[\vgprAddr+0]     // add prepad for pointer shift
v_lshlrev_b32 v[\vgprAddr+0], 0x3, v[\vgprAddr+0]  // offset *= bytes/element
.endm

/******************************************/
/* Dynamic Scalar Divide: vQuotient=vDividend/vDivisor; vRemainder=vDividend%vDivisor; */
/******************************************/
.macro DYNAMIC_VECTOR_DIVIDE vQuotient vRemainder vDividend vDivisor vTmp0 vTmp1 sTmp
v_cvt_f32_u32 v[\vQuotient], v[\vDivisor]          // 
v_rcp_f32 v[\vQuotient], v[\vQuotient]             // 
v_mul_f32 v[\vQuotient], 0x4f800000, v[\vQuotient] // 
v_cvt_u32_f32 v[\vQuotient], v[\vQuotient]         // 
v_mul_lo_u32 v[\vRemainder], v[\vDivisor], v[\vQuotient] // 
v_mul_hi_u32 v[\vTmp0], v[\vDivisor], v[\vQuotient] // 
_v_sub_co_u32 v[\vTmp1], vcc, 0x0, v[\vRemainder]  // 
v_cmp_ne_i32 s[\sTmp:\sTmp+1], 0x0, v[\vTmp0]      // 
v_cndmask_b32 v[\vRemainder], v[\vTmp1], v[\vRemainder], s[\sTmp:\sTmp+1] // 
v_mul_hi_u32 v[\vRemainder], v[\vRemainder], v[\vQuotient] // 
_v_sub_co_u32 v[\vTmp0], vcc, v[\vQuotient], v[\vRemainder] // 
_v_add_co_u32 v[\vQuotient], vcc, v[\vQuotient], v[\vRemainder] // 
v_cndmask_b32 v[\vQuotient], v[\vQuotient], v[\vTmp0], s[\sTmp:\sTmp+1] // 
v_mul_hi_u32 v[\vQuotient], v[\vQuotient], v[\vDividend] // 
v_mul_lo_u32 v[\vRemainder], v[\vQuotient], v[\vDivisor] // 
_v_sub_co_u32 v[\vTmp0], vcc, v[\vDividend], v[\vRemainder] // 
v_cmp_ge_u32 s[\sTmp:\sTmp+1], v[\vDividend], v[\vRemainder] // 
_v_add_co_u32 v[\vRemainder], vcc, 0x1, v[\vQuotient] // 
_v_add_co_u32 v[\vTmp1], vcc, -1, v[\vQuotient]    // 
v_cmp_le_u32 vcc, v[\vDivisor], v[\vTmp0]          // 
s_and_b64 vcc, s[\sTmp:\sTmp+1], vcc               // 
v_cndmask_b32 v[\vQuotient], v[\vQuotient], v[\vRemainder], vcc // 
v_cndmask_b32 v[\vQuotient], v[\vTmp1], v[\vQuotient], s[\sTmp:\sTmp+1] // 
v_cmp_ne_i32 vcc, 0x0, v[\vDivisor]                // 
v_cndmask_b32 v[\vQuotient], -1, v[\vQuotient], vcc // final result
v_mul_lo_u32 v[\vRemainder], v[\vQuotient], v[\vDivisor] // 
_v_sub_co_u32 v[\vRemainder], vcc, v[\vDividend], v[\vRemainder] // final result
.endm


	;; [unrolled: 1-line block ×3, first 2 shown]
/******************************************/
/* Allocate Resources                     */
/******************************************/

Cijk_Ailk_Bljk_DB_GB_MT128x128x16_MI16x16x4x1_SN_1LDSB1_APM1_ABV0_ACED0_AF0EM1_AF1EM1_AMAS3_ASE_ASGT_ASLT_ASEM1_AAC0_BL1_BS1_CLR0_DTVA0_DVO0_ETSP_EPS0_EMLL0_FL0_GLVWA2_GLVWB2_GRPM1_GRVW2_GSU12_GSUASB_GLS1_ISA90a_IU1_K1_KLA_LBSPPA0_LBSPPB0_LPA0_LPB0_LDL1_LRVW1_LWPMn1_LDW0_MAC_MIAV0_MO40_MMFGLC_NTA0_NTB0_NTC0_NTD0_NEPBS1_NLCA1_NLCB1_ONLL1_OPLV0_PK0_PAP0_PGR2_PLR5_SIA3_SS1_SU32_SUM0_SUS128_SCIUI1_SPO1_SRVW0_SSO0_SVW1_SNLL0_TSGRA0_TSGRB0_TT4_64_TLDS0_UMLDSA0_UMLDSB0_USFGROn1_VAW1_VSn1_VW2_VWB1_VFLRP0_WSGRA0_WSGRB0_WG32_8_1_WGM5_preloaded: // Kernel start when preloading
s_setprio 3                                        // optimization store

/* Load Kernel Args */
_s_load_b512 s[28:43], s[sgprKernArgAddress:sgprKernArgAddress+1], 0x0 // 
_s_load_b512 s[44:59], s[sgprKernArgAddress:sgprKernArgAddress+1], 0x40 // 
_s_load_b256 s[60:67], s[sgprKernArgAddress:sgprKernArgAddress+1], 0x80 // 
_s_load_b64 s[68:69], s[sgprKernArgAddress:sgprKernArgAddress+1], 0xa0 // 
s_mov_b32 m0, 0x8000                               // LDS clamp at 32768 bytes
v_mov_b32 v[vgprSerial], v0                        // thread serial id

/******************************************/
/* Local Read Addresses                   */
/******************************************/


/* local read addresses: tile assignments a/b */

/*lr0I*/
v_and_b32 v1, 63, v[vgprSerial]                    // 0. thread id in wave: wtid = tid % wavelength(64)
v_and_b32 v0, 15, v1                               // 1. N offset: nIdx = wtid % MI_N(16)
                                                   // 1. N offset: nOffset = nIdx * nStride(1) (multiplier is 1, do nothing)
                                                   // 2. block offset: bnIdx = bnIdx % num1DBlocks(1) is 0. do nothing
v_lshlrev_b32 v0, 0x1, v0                          // 4. apply VectorWidth: bnOffset = bnOffset * vw(2)
v_lshrrev_b32 v1, 4, v1                            // 5. K offset: kIdx = wtid / (MIN(16) * MIBB(1))
v_lshlrev_b32 v1, 0x7, v1                          // 5. K offset: lrKOffset = kIdx * mStride(128)
_v_add_u32 v0, v1, v0                              // 6. offset in wave: lrOffset = bnOffset + lrKOffset
v_lshrrev_b32 v2, 6, v[vgprSerial]                 // 7. wave offset in N dimen: wtid = tid / dividedForWaveId(64)
v_and_b32 v1, 1, v2                                // 7. wave offset in M dimen: wtid0 = wtid / num1DWaves(2)
v_lshlrev_b32 v1, 0x5, v1                          // 7. wave offset in M dimen: wOffset = wtid0 * W0Stride(32)
_v_add_u32 v0, v1, v0                              // 8. final local read offset: flrOffset = lrOffset + WOffset
/*lr1J*/
v_and_b32 v2, 63, v[vgprSerial]                    // 0. thread id in wave: wtid = tid % wavelength(64)
v_and_b32 v1, 15, v2                               // 1. N offset: nIdx = wtid % MI_N(16)
                                                   // 1. N offset: nOffset = nIdx * nStride(1) (multiplier is 1, do nothing)
                                                   // 2. block offset: bnIdx = bnIdx % num1DBlocks(1) is 0. do nothing
                                                   // 4. apply VectorWidth: bnOffset = bnOffset * vw(1) (multiplier is 1, do nothing)
v_lshrrev_b32 v2, 4, v2                            // 5. K offset: kIdx = wtid / (MIN(16) * MIBB(1))
v_lshlrev_b32 v2, 0x7, v2                          // 5. K offset: lrKOffset = kIdx * mStride(128)
_v_add_u32 v1, v2, v1                              // 6. offset in wave: lrOffset = bnOffset + lrKOffset
v_lshrrev_b32 v3, 7, v[vgprSerial]                 // 7. wave offset in N dimen: wtid = tid / dividedForWaveId(128)
v_and_b32 v2, 1, v3                                // 7. wave offset in M dimen: wtid0 = wtid / num1DWaves(2)
v_lshlrev_b32 v2, 0x4, v2                          // 7. wave offset in M dimen: wOffset = wtid0 * W0Stride(16)
_v_add_u32 v1, v2, v1                              // 8. final local read offset: flrOffset = lrOffset + WOffset


/* local read addresses: final offsets a */

v_lshlrev_b32 v[vgprLocalReadAddrA], 0x3, v0       // Final Offset: offset = (lro0)*bpe


/* local read addresses: final offsets b */

v_lshlrev_b32 v[vgprLocalReadAddrB], 0x3, v1       // Final Offset: offset = (lro1)*bpe


/* local read addresses: declare addresses a */

/* N/A */


/* local read addresses: declare addresses b */

_v_add_co_u32 v[vgprLocalReadAddrB+0], vcc, 0x4000, v[vgprLocalReadAddrB+0] //  += LdsOffsetB (lower)


/* global read addresses: tile offset assignment a */

/* LVCA = 64 */
/* v0 = (local)groA-tile = serial%LVCA (note (wgA*MTA) will be added to SRD) */
/* v1 = groA-unroll = serial/LVCA */
v_lshrrev_b32 v1, 6, v[vgprSerial]                 // v1 = v[vgprSerial] / 64
v_and_b32 v0, 63, v[vgprSerial]                    // v0 = v[vgprSerial] % 64
/* gro-tile *= glvw */
v_lshlrev_b32 v0, 0x1, v0                          // v0 = v0 * 2
v_mov_b32 v2, v1                                   // copy for GlobalSplitU


/* global read addresses: tile offset assignment b */

/* LVCB = 8 */
/* v3 = (local)groB-tile = serial/LVCB (note (wgB*MTB) will be added to SRD) */
/* v4 = groB-unroll = serial%LVCB */
v_lshrrev_b32 v3, 3, v[vgprSerial]                 // v3 = v[vgprSerial] / 8
v_and_b32 v4, 7, v[vgprSerial]                     // v4 = v[vgprSerial] % 8
/* gro-unroll *= glvw */
v_lshlrev_b32 v4, 0x1, v4                          // v4 = v4 * 2
v_mov_b32 v5, v4                                   // copy for GlobalSplitU


/******************************************/
/* Local Write Addresses                  */
/******************************************/

/* lwaTileAssignmentA = v0 */

/* lwaTileAssignmentB = v3 */

/* lwaUnrollAssignmentA = v2 */

/* lwaUnrollAssignmentB = v5 */


/* local write addresses: first offset a */

v_mul_u32_u24 v[vgprLocalWriteAddrA], 0x80, v2     // lwAL**(MTA + PAD)
_v_add_lshl_u32 v[vgprLocalWriteAddrA], v0, v[vgprLocalWriteAddrA], 0x3 // lwFOA = (lwAA + lwAL*(MT0I+PAD))*bpe


/* local write addresses: first offset b */

v_mul_u32_u24 v[vgprLocalWriteAddrB], 0x80, v5     // lwBL**(MTB + PAD)
_v_add_lshl_u32 v[vgprLocalWriteAddrB], v3, v[vgprLocalWriteAddrB], 0x3 // lwFOB = (lwBB + lwBL*(MT1J+PAD))*bpe
_v_add_co_u32 v[vgprLocalWriteAddrB], vcc, 0x4000, v[vgprLocalWriteAddrB] // lwFOB = lwB1J + lwBL*MT1J + LDS_OFFSET_B=2048*8


	;; [unrolled: 1-line block ×7, first 2 shown]
s_waitcnt lgkmcnt(0)                               // wait for 168 bytes of kern args

s_mul_i32 s70, s[sgprWorkGroup2], 8                // offset of global buffer address
_s_load_b64 s[sgprAddressD:sgprAddressD+1], s[sgprAddressD:sgprAddressD+1], s70 // load global buffer D address
v_cmp_eq_f64 vcc, s[sgprBeta:sgprBeta+1], 0.0      // Beta == 0.0 ?
s_cbranch_vccnz label_skip_c_buffer_deref_WorkGroup2_10 // branch if Beta == 0
s_mul_i32 s70, s[sgprWorkGroup2], 8                // offset of global buffer address
_s_load_b64 s[sgprAddressC:sgprAddressC+1], s[sgprAddressC:sgprAddressC+1], s70 // load global buffer C address
label_skip_c_buffer_deref_WorkGroup2_10: // 
s_mov_b32 s70, 0x1                                 // check summation size
s_mul_i32 s70, s[sgprSizesSum+0], s70              // check summation size
s_cmp_eq_u32 s70, 0x0                              // skip buffer deref is size of summation is 0
s_cbranch_scc1 label_skip_ab_buffer_deref_WorkGroup2_11 // skip buffer deref is size of summation is 0
v_cmp_eq_f64 vcc, s[sgprAlpha:sgprAlpha+1], 0.0    // Alpha == 0.0 ?
s_cbranch_vccnz label_skip_ab_buffer_deref_WorkGroup2_11 // branch if Alpha == 0
s_mul_i32 s70, s[sgprWorkGroup2], 8                // offset of global buffer address
_s_load_b64 s[sgprAddressA:sgprAddressA+1], s[sgprAddressA:sgprAddressA+1], s70 // load global buffer A address
_s_load_b64 s[sgprAddressB:sgprAddressB+1], s[sgprAddressB:sgprAddressB+1], s70 // load global buffer B address
label_skip_ab_buffer_deref_WorkGroup2_11: // 
s_waitcnt lgkmcnt(0)                               // wait global buffer address ready
s_lshl_b64 s[sgprOffsetD:sgprOffsetD+1], s[sgprOffsetD:sgprOffsetD+1], 0x3 // elements offset to bytes offset
s_add_u32 s[sgprSrdD+0], s[sgprAddressD+0], s[sgprOffsetD] // add offset to buffer address
s_addc_u32 s[sgprSrdD+1], s[sgprAddressD+1], s[sgprOffsetD+1] // add offset to buffer address
s_lshl_b64 s[sgprOffsetC:sgprOffsetC+1], s[sgprOffsetC:sgprOffsetC+1], 0x3 // elements offset to bytes offset
s_add_u32 s[sgprSrdC+0], s[sgprAddressC+0], s[sgprOffsetC] // add offset to buffer address
s_addc_u32 s[sgprSrdC+1], s[sgprAddressC+1], s[sgprOffsetC+1] // add offset to buffer address
s_lshl_b64 s[sgprOffsetA:sgprOffsetA+1], s[sgprOffsetA:sgprOffsetA+1], 0x3 // elements offset to bytes offset
s_add_u32 s[sgprSrdA+0], s[sgprAddressA+0], s[sgprOffsetA] // add offset to buffer address
s_addc_u32 s[sgprSrdA+1], s[sgprAddressA+1], s[sgprOffsetA+1] // add offset to buffer address
s_lshl_b64 s[sgprOffsetB:sgprOffsetB+1], s[sgprOffsetB:sgprOffsetB+1], 0x3 // elements offset to bytes offset
s_add_u32 s[sgprSrdB+0], s[sgprAddressB+0], s[sgprOffsetB] // add offset to buffer address
s_addc_u32 s[sgprSrdB+1], s[sgprAddressB+1], s[sgprOffsetB+1] // add offset to buffer address
s_sub_u32 s[sgprSrdA+0], s[sgprSrdA+0], 16         // pre-pad to make room for possible pointer shift
s_subb_u32 s[sgprSrdA+1], s[sgprSrdA+1], 0         // pre-pad to make room for possible pointer shift
s_sub_u32 s[sgprSrdB+0], s[sgprSrdB+0], 16         // pre-pad to make room for possible pointer shift
s_subb_u32 s[sgprSrdB+1], s[sgprSrdB+1], 0         // pre-pad to make room for possible pointer shift

.set OffsetD, UNDEF
.set OffsetC, UNDEF
.set OffsetA, UNDEF
.set OffsetB, UNDEF
.set AddressD, UNDEF
.set AddressC, UNDEF
.set AddressA, UNDEF
.set AddressB, UNDEF

/* Short circuit condition if Alpha == 0, then sumDims=0 */
v_cmp_eq_f64 vcc, s[sgprAlpha:sgprAlpha+1], 0.0    // Alpha == 0.0 ?
s_cbranch_vccz label_AlphaNonZero                  // branch if Alpha != 0
s_mov_b32 s[sgprSizesSum+0], 0x0                   // Set summation dim=0 if Alpha == 0
label_AlphaNonZero:


	;; [unrolled: 1-line block ×3, first 2 shown]
/******************************************/
/* Begin setupNewTile, isPap=False           */
/******************************************/


/* global read addresses: work-group */

/* graWorkGroup mapping */
// GSU-not-WGMapRR :nwg1 = (size1J + MT1J - 1) / MT1J;
s_mov_b32 s44, s[sgprWorkGroup1]                   // copying for divisor
s_mov_b32 s43, 0x0                                 // STATIC_DIV: divisior=12
s_mul_i32 s42, 0x2aaa, s44                         // tmp1 = dividend * magic hi
s_lshl_b64 s[42:43], s[42:43], 0x10                // left shift 16 bits
s_mul_i32 s[sgprWorkGroup1], s44, 0xaaab           // tmp0 = dividend * magic lo
s_add_u32 s42, s[sgprWorkGroup1], s42              // add lo
s_addc_u32 s43, s43, 0x0                           // add hi
s_lshr_b64 s[42:43], s[42:43], 0x21                // tmp1 = (dividend * magic) << shift
s_mov_b32 s[sgprWorkGroup1], s42                   // quotient
s_mul_i32 s42, s[sgprWorkGroup1], 0xc              // quotient*divisor
s_sub_u32 s[sgprGSUSumIdx], s44, s42               // rReg = dividend - quotient*divisor
s_mov_b32 s45, 0x1999999aL                         // magic number for WGM==5
s_mul_hi_u32 s43, s[sgprWorkGroup1], s45           // s_magic mul
s_mul_i32 s42, s[sgprWorkGroup1], s45              // s_magic mul
s_lshr_b64 s[42:43], s[42:43], 31                  // sMagicDiv
s_mul_i32 s43, s42, 5                              // quotient * non-magic divisor
s_sub_u32 s43, s[sgprWorkGroup1], s43              // WorkGroup1=remainder
s_mul_i32 s43, s43, s[sgprNumWorkGroups0]          // (wg1 % WGM)*nwg0
s_add_u32 s43, s43, s[sgprWorkGroup0]              // wgSerial = wg0 + (wg1 % WGM)*nwg1
s_cmp_ge_u32 s42, s[sgprNumFullBlocks]             // blockId >= numFullBlocks ?
s_cmov_b32 s45, s[sgprMagicNumberWgmRemainder1]    // 
s_cselect_b32 s44, s[sgprWgmRemainder1], 5         // 
s_mul_hi_u32 s3, s43, s45                          // s_magic mul
s_mul_i32 s2, s43, s45                             // s_magic mul
s_lshr_b64 s[2:3], s[2:3], 31                      // sMagicDiv
s_mul_i32 s[sgprWorkGroup1], s[sgprWorkGroup0], s44 // quotient * non-magic divisor
s_sub_u32 s[sgprWorkGroup1], s43, s[sgprWorkGroup1] // WorkGroup1=remainder
s_mul_i32 s42, s42, 5                              // blockId * WGM
s_add_u32 s[sgprWorkGroup1], s[sgprWorkGroup1], s42 // wg1 += blockId * WGM


/* global read addresses: unroll assignment a */

/* v1 */


/* global read addresses: unroll assignment b */

/* v4 */


/* global read addresses: other free assignments */

/* s[sgprWorkGroup2] */


/* global read addresses: tile offsets a */

v_mov_b32 v6, v0                                   // groA0I_0


/* global read addresses: tile offsets b */

v_mov_b32 v7, v3                                   // groB1J_0
_v_add_co_u32 v8, vcc, 32, v7                      // groB1J_1 += LSPB
_v_add_co_u32 v9, vcc, 32, v8                      // groB1J_2 += LSPB
_v_add_co_u32 v10, vcc, 32, v9                     // groB1J_3 += LSPB


/* global read addresses: unroll offsets a */

v_mov_b32 v11, v1                                  // groAL_0
_v_add_co_u32 v12, vcc, 4, v11                     // groAL_1 + LSPA
_v_add_co_u32 v13, vcc, 4, v12                     // groAL_2 + LSPA
_v_add_co_u32 v14, vcc, 4, v13                     // groAL_3 + LSPA


/* global read addresses: unroll offsets b */

v_mov_b32 v15, v4                                  // groBL_0


/* global read addresses: shift a */

s_mul_i32 s42, s[sgprWorkGroup0], 128              // WorkGroup[01] * MT
s_sub_u32 s42, s[sgprSizeI], s42                   // edge = Size0I - WG*MT
s_sub_u32 s42, s42, 2                              // edge -= margin(2)
v_mov_b32 v16, s42                                 // edge vgpr = Size0I- WG*MT - margin(2)
v_min_i32 v6, v16, v6                              // offset = (offset < edge) ? offset(v6) : edge(v16)


/* global read addresses: final offsets a */

GLOBAL_OFFSET_A vgprGlobalReadOffsetA+0,  6, 11, 16 // gROA_0_0_0_0
GLOBAL_OFFSET_A vgprGlobalReadOffsetA+1,  6, 12, 16 // gROA_0_0_1_0
GLOBAL_OFFSET_A vgprGlobalReadOffsetA+2,  6, 13, 16 // gROA_0_0_2_0
GLOBAL_OFFSET_A vgprGlobalReadOffsetA+3,  6, 14, 16 // gROA_0_0_3_0


/* global read addresses: final offsets b */

GLOBAL_OFFSET_B vgprGlobalReadOffsetB+0, 15,  7, 11 // gROB_0_0_0_0
GLOBAL_OFFSET_B vgprGlobalReadOffsetB+1, 15,  8, 11 // gROB_0_0_1_0
GLOBAL_OFFSET_B vgprGlobalReadOffsetB+2, 15,  9, 11 // gROB_0_0_2_0
GLOBAL_OFFSET_B vgprGlobalReadOffsetB+3, 15, 10, 11 // gROB_0_0_3_0


/* global read addresses: addresses a */

/* max read offset = size[n] * stride[n-1] */
s_mul_hi_u32 s45, s[sgprWorkGroup0], 128           // WorkGroup[01] * MT
s_mul_i32 s44, s[sgprWorkGroup0], 128              // WorkGroup[01] * MT
s_mul_hi_u32 s43, 16, s[sgprGSUSumIdx]             // gsuOffset = DepthU*bpe*GSUSumIdx
s_mul_i32 s42, 16, s[sgprGSUSumIdx]                // gsuOffset = DepthU*bpe*GSUSumIdx
s_mul_hi_u32 s43, s42, s[sgprStrideAL]             // tlu=1, scaled unroll-offset by stride
s_mul_i32 s42, s42, s[sgprStrideAL]                // tlu=1, scaled unroll-offset by stride
s_add_u32 s44, s44, s42                            // accum GsuOffset term to tilestart
s_addc_u32 s45, s45, s43                           // accum GsuOffset term to tilestart
s_sub_u32 s[sgprShadowLimitA+0], s[sgprTensor2dSizeA], s44 // sub tileStart
s_subb_u32 s[sgprShadowLimitA+1], s[sgprTensor2dSizeA+1], s45 // sub tileStart
s_lshl_b64 s[sgprShadowLimitA:sgprShadowLimitA+1], s[sgprShadowLimitA:sgprShadowLimitA+1], 0x3 // Set limit to use bytes
s_add_u32 s[sgprShadowLimitA+0], s[sgprShadowLimitA+0], 16 // extend limit for pre-pad
s_addc_u32 s[sgprShadowLimitA+1], s[sgprShadowLimitA+1], 0 // extend limit for pre-pad
s_cmp_eq_u32 s[sgprShadowLimitA+1], 0              // are we within 2^32?
s_cselect_b32 s[sgprSrdA+2], s[sgprShadowLimitA+0], BufferLimitA // Move shadow to real if we are within 2^32
s_lshl_b64 s[44:45], s[44:45], 0x3                 // tileStart *= BPE
s_add_u32 s[sgprSrdA+0], s[sgprSrdA+0], s44        // SRD base = Address+ tileStart0
s_addc_u32 s[sgprSrdA+1], s[sgprSrdA+1], s45       // SRD base = Address+ tileStart1
s_mov_b32 s[sgprSrdA+3], Srd127_96                 // Set bits 127_96 in SRD


/* global read addresses: addresses b */

/* max read offset = size[n] * stride[n-1] */
s_mul_hi_u32 s45, s[sgprWorkGroup1], 128           // WorkGroup[01] * MT
s_mul_i32 s44, s[sgprWorkGroup1], 128              // WorkGroup[01] * MT
s_mul_hi_u32 s45, s44, s[sgprStrideB1J]            // tlu=0, scaled tile-offset by stride
s_mul_i32 s44, s44, s[sgprStrideB1J]               // tlu=0, scaled tile-offset by stride
s_mul_hi_u32 s43, 16, s[sgprGSUSumIdx]             // gsuOffset = DepthU*bpe*GSUSumIdx
s_mul_i32 s42, 16, s[sgprGSUSumIdx]                // gsuOffset = DepthU*bpe*GSUSumIdx
s_add_u32 s44, s44, s42                            // accum GsuOffset term to tilestart
s_addc_u32 s45, s45, s43                           // accum GsuOffset term to tilestart
s_sub_u32 s[sgprShadowLimitB+0], s[sgprTensor2dSizeB], s44 // sub tileStart
s_subb_u32 s[sgprShadowLimitB+1], s[sgprTensor2dSizeB+1], s45 // sub tileStart
s_lshl_b64 s[sgprShadowLimitB:sgprShadowLimitB+1], s[sgprShadowLimitB:sgprShadowLimitB+1], 0x3 // Set limit to use bytes
s_add_u32 s[sgprShadowLimitB+0], s[sgprShadowLimitB+0], 16 // extend limit for pre-pad
s_addc_u32 s[sgprShadowLimitB+1], s[sgprShadowLimitB+1], 0 // extend limit for pre-pad
s_cmp_eq_u32 s[sgprShadowLimitB+1], 0              // are we within 2^32?
s_cselect_b32 s[sgprSrdB+2], s[sgprShadowLimitB+0], BufferLimitB // Move shadow to real if we are within 2^32
s_lshl_b64 s[44:45], s[44:45], 0x3                 // tileStart *= BPE
s_add_u32 s[sgprSrdB+0], s[sgprSrdB+0], s44        // SRD base = Address+ tileStart0
s_addc_u32 s[sgprSrdB+1], s[sgprSrdB+1], s45       // SRD base = Address+ tileStart1
s_mov_b32 s[sgprSrdB+3], Srd127_96                 // Set bits 127_96 in SRD


/* global read addresses: increments a */

s_mul_i32 s[sgprGlobalReadIncsA+0], DepthU*BpeA*12, s[sgprStrideAL] // incrA unrollIdx)


/* global read addresses: increments b */

s_mov_b32 s[sgprGlobalReadIncsB+0], DepthU*BpeB*12 // incrB (unrollIdx)

/* declare loop num iterations */


s_lshr_b32 s[sgprLoopCounterL], s[sgprSizesSum+0], 4 // s[sgprLoopCounterL] = s[sgprSizesSum+0] / 16
v_mov_b32 v2, s[sgprLoopCounterL]                  // copy for divide IterGsu
s_mov_b32 s42, 0x2aaaaaab                          // v0 = v2 / 12
v_mul_hi_u32 v0, v2, s42                           // v0 = v2 / 12
v_lshrrev_b32 v0, 0x1, v0                          // v0 = v2 / 12
s_mov_b32 s42, 0xc                                 // v1 = v2 % 12
v_mul_lo_u32 v1, v0, s42                           // v1 = v2 % 12
_v_sub_u32 v1, v2, v1                              // v1 = v2 % 12
v_readfirstlane_b32 s[sgprLoopCounterL], v0        // 
v_readfirstlane_b32 s[sgprGSUSumIdx+1], v1         // 
s_add_u32 s42, 1, s[sgprLoopCounterL]              // tmp<-numIterMyWg+
s_cmp_lt_u32 s[sgprGSUSumIdx], s[sgprGSUSumIdx+1]  // gsuSumIdx < numIterPerWgRemainder
s_cmov_b32 s[sgprLoopCounterL], s42                // numIterMyWg++ if needed
s_mov_b32 s[sgprOrigLoopCounter], s[sgprLoopCounterL] // copy loop counter

s_and_b32 s[sgprStaggerUIter], s[sgprOrigStaggerUIter], s[sgprWorkGroup0] // Compute actual stagger start for this tile


/* SRDs += (StaggerUIter) * GlobalReadIncsA+0 */
s_mul_hi_u32 s43, s[sgprStaggerUIter], s[sgprGlobalReadIncsA+0] //  stagger byte offset
s_mul_i32 s42, s[sgprStaggerUIter], s[sgprGlobalReadIncsA+0] //  stagger byte offset
s_mul_hi_u32 s[sgprWrapUA+1], s[sgprLoopCounterL], s[sgprGlobalReadIncsA+0] // Number of bytes accessed by the unroll loop
s_mul_i32 s[sgprWrapUA+0], s[sgprLoopCounterL], s[sgprGlobalReadIncsA+0] // Number of bytes accessed by the unroll loop
s_sub_u32 s[sgprWrapUA+0], s[sgprGlobalReadIncsA+0], s[sgprWrapUA+0] // remove one iteration
s_subb_u32 s[sgprWrapUA+1], 0, s[sgprWrapUA+1]     // remove one iteration
s_add_u32 s[sgprSrdA+0], s[sgprSrdA+0], s42        // gra SRD += inc(lower)
s_addc_u32  s[sgprSrdA+1], s[sgprSrdA+1], s43      // gra SRD += inc(upper)
s_sub_u32 s[sgprShadowLimitA+0], s[sgprShadowLimitA+0], s42 // limit -= inc)
s_subb_u32 s[sgprShadowLimitA+1], s[sgprShadowLimitA+1], s43 // limit -= inc)
s_cmp_eq_u32 s[sgprShadowLimitA+1], 0              // are we within 2^32?
s_cselect_b32 s[sgprSrdA+2], s[sgprShadowLimitA+0], BufferLimitA // Move shadow to real if we are within 2^32


/* SRDs += (StaggerUIter) * GlobalReadIncsB+0 */
s_mul_hi_u32 s43, s[sgprStaggerUIter], s[sgprGlobalReadIncsB+0] //  stagger byte offset
s_mul_i32 s42, s[sgprStaggerUIter], s[sgprGlobalReadIncsB+0] //  stagger byte offset
s_mul_hi_u32 s[sgprWrapUB+1], s[sgprLoopCounterL], s[sgprGlobalReadIncsB+0] // Number of bytes accessed by the unroll loop
s_mul_i32 s[sgprWrapUB+0], s[sgprLoopCounterL], s[sgprGlobalReadIncsB+0] // Number of bytes accessed by the unroll loop
s_sub_u32 s[sgprWrapUB+0], s[sgprGlobalReadIncsB+0], s[sgprWrapUB+0] // remove one iteration
s_subb_u32 s[sgprWrapUB+1], 0, s[sgprWrapUB+1]     // remove one iteration
s_add_u32 s[sgprSrdB+0], s[sgprSrdB+0], s42        // gra SRD += inc(lower)
s_addc_u32  s[sgprSrdB+1], s[sgprSrdB+1], s43      // gra SRD += inc(upper)
s_sub_u32 s[sgprShadowLimitB+0], s[sgprShadowLimitB+0], s42 // limit -= inc)
s_subb_u32 s[sgprShadowLimitB+1], s[sgprShadowLimitB+1], s43 // limit -= inc)
s_cmp_eq_u32 s[sgprShadowLimitB+1], 0              // are we within 2^32?
s_cselect_b32 s[sgprSrdB+2], s[sgprShadowLimitB+0], BufferLimitB // Move shadow to real if we are within 2^32
s_add_u32 s[sgprStaggerUIter], s[sgprStaggerUIter], 2 // Subtract (PGR-1); StaggerUIter now contains target iteration to wrap

/* local read addresses: init pointers a */


/* localReadInitPointers */

/* local read addresses: init pointers b */


/* localReadInitPointers */


/* prefetch: global -> local */

s_cmp_eq_u32 s[sgprLoopCounterL], 0                // at last iteration?
s_setprio 0                                        // optimization store
s_cbranch_scc1 ShadowInitStart_12                  // skip to ShadowInitStart iter b/c numIter==0


_buffer_load_b128 v[vgprG2LA+0:vgprG2LA+0+3], v[vgprGlobalReadOffsetA+0], s[sgprSrdA:sgprSrdA+3], 0, offen offset:0 // G -> Reg 0_0_0_0
_buffer_load_b128 v[vgprG2LA+4:vgprG2LA+4+3], v[vgprGlobalReadOffsetA+1], s[sgprSrdA:sgprSrdA+3], 0, offen offset:0 // G -> Reg 0_0_1_0
_buffer_load_b128 v[vgprG2LA+8:vgprG2LA+8+3], v[vgprGlobalReadOffsetA+2], s[sgprSrdA:sgprSrdA+3], 0, offen offset:0 // G -> Reg 0_0_2_0
_buffer_load_b128 v[vgprG2LA+12:vgprG2LA+12+3], v[vgprGlobalReadOffsetA+3], s[sgprSrdA:sgprSrdA+3], 0, offen offset:0 // G -> Reg 0_0_3_0


_buffer_load_b128 v[vgprG2LB+0:vgprG2LB+0+3], v[vgprGlobalReadOffsetB+0], s[sgprSrdB:sgprSrdB+3], 0, offen offset:0 // G -> Reg 0_0_0_0
_buffer_load_b128 v[vgprG2LB+4:vgprG2LB+4+3], v[vgprGlobalReadOffsetB+1], s[sgprSrdB:sgprSrdB+3], 0, offen offset:0 // G -> Reg 0_0_1_0
_buffer_load_b128 v[vgprG2LB+8:vgprG2LB+8+3], v[vgprGlobalReadOffsetB+2], s[sgprSrdB:sgprSrdB+3], 0, offen offset:0 // G -> Reg 0_0_2_0
_buffer_load_b128 v[vgprG2LB+12:vgprG2LB+12+3], v[vgprGlobalReadOffsetB+3], s[sgprSrdB:sgprSrdB+3], 0, offen offset:0 // G -> Reg 0_0_3_0


/* global read inc A loopL */
s_add_u32 s44, s[sgprLoopCounterL], 1              // remove pf(1)
s_cmp_eq_u32 s[sgprStaggerUIter], s44              // Is this wrapIter? (pf)
s_cselect_b32 s42, s[sgprWrapUA+0], s[sgprGlobalReadIncsA+0] // incLower <- ?
s_cselect_b32 s43, s[sgprWrapUA+1], 0              // incUpper <- ?
s_add_u32 s[sgprSrdA+0], s[sgprSrdA+0], s42        // gra SRD += inc(lower)
s_addc_u32  s[sgprSrdA+1], s[sgprSrdA+1], s43      // gra SRD += inc(upper)
s_sub_u32 s[sgprShadowLimitA+0], s[sgprShadowLimitA+0], s42 // limit -= inc)
s_subb_u32 s[sgprShadowLimitA+1], s[sgprShadowLimitA+1], s43 // limit -= inc)
s_cmp_eq_u32 s[sgprShadowLimitA+1], 0              // are we within 2^32?
s_cselect_b32 s[sgprSrdA+2], s[sgprShadowLimitA+0], BufferLimitA // Move shadow to real if we are within 2^32

/* global read inc B loopL */
s_add_u32 s44, s[sgprLoopCounterL], 1              // remove pf(1)
s_cmp_eq_u32 s[sgprStaggerUIter], s44              // Is this wrapIter? (pf)
s_cselect_b32 s42, s[sgprWrapUB+0], s[sgprGlobalReadIncsB+0] // incLower <- ?
s_cselect_b32 s43, s[sgprWrapUB+1], 0              // incUpper <- ?
s_add_u32 s[sgprSrdB+0], s[sgprSrdB+0], s42        // gra SRD += inc(lower)
s_addc_u32  s[sgprSrdB+1], s[sgprSrdB+1], s43      // gra SRD += inc(upper)
s_sub_u32 s[sgprShadowLimitB+0], s[sgprShadowLimitB+0], s42 // limit -= inc)
s_subb_u32 s[sgprShadowLimitB+1], s[sgprShadowLimitB+1], s43 // limit -= inc)
s_cmp_eq_u32 s[sgprShadowLimitB+1], 0              // are we within 2^32?
s_cselect_b32 s[sgprSrdB+2], s[sgprShadowLimitB+0], BufferLimitB // Move shadow to real if we are within 2^32


/******************************************/
/* End setupNewTile, isPap=False             */
/******************************************/

ShadowInitStart_12: // 

s_mov_b32 s[sgprSrdD+2], BufferOOB                 // 
s_mov_b32 s[sgprSrdD+3], Srd127_96                 // Set bits 127_96 in post-loop SRD

s_mov_b32 s[sgprSrdC+2], BufferOOB                 // 
s_mov_b32 s[sgprSrdC+3], Srd127_96                 // Set bits 127_96 in post-loop SRD


s_mul_i32 s44, MT1, s[sgprWorkGroup1]              // <- wg1*MT1
s_mul_hi_u32 s43, s44, s[sgprStrideC1J]            // CScale s44 by Stride
s_mul_i32 s42, s44, s[sgprStrideC1J]               // CScale s44 by Stride
s_lshl_b64 s[42:43], s[42:43], 3                   // scale by bpe
s_add_u32 s[sgprSrdC+0], s[sgprSrdC+0], s42        // add lo to SRD
s_addc_u32 s[sgprSrdC+1], s[sgprSrdC+1], s43       // add hi to SRD
s_mul_hi_u32 s43, s44, s[sgprStrideD1J]            // Scale s44 by Stride
s_mul_i32 s42, s44, s[sgprStrideD1J]               // Scale s44 by Stride
s_lshl_b64 s[42:43], s[42:43], 3                   // scale by bpe
s_add_u32 s[sgprSrdD+0], s[sgprSrdD+0], s42        // add lo to SRD
s_addc_u32 s[sgprSrdD+1], s[sgprSrdD+1], s43       // add hi to SRD


	;; [unrolled: 1-line block ×3, first 2 shown]
/* initC: remove C-tile 0-0 from pool */

/* initC: remove AB-tile 0-64 from pool */
v_mov_b32 v109, 15728640                           // set out-of-bound addr
_ds_load_b32 acc0, v109, offset:0                  // initC
_ds_load_b32 acc1, v109, offset:0                  // initC
_ds_load_b32 acc2, v109, offset:0                  // initC
_ds_load_b32 acc3, v109, offset:0                  // initC
_ds_load_b32 acc4, v109, offset:0                  // initC
_ds_load_b32 acc5, v109, offset:0                  // initC
_ds_load_b32 acc6, v109, offset:0                  // initC
_ds_load_b32 acc7, v109, offset:0                  // initC
_ds_load_b32 acc8, v109, offset:0                  // initC
_ds_load_b32 acc9, v109, offset:0                  // initC
_ds_load_b32 acc10, v109, offset:0                 // initC
_ds_load_b32 acc11, v109, offset:0                 // initC
_ds_load_b32 acc12, v109, offset:0                 // initC
_ds_load_b32 acc13, v109, offset:0                 // initC
_ds_load_b32 acc14, v109, offset:0                 // initC
_ds_load_b32 acc15, v109, offset:0                 // initC
_ds_load_b32 acc16, v109, offset:0                 // initC
_ds_load_b32 acc17, v109, offset:0                 // initC
_ds_load_b32 acc18, v109, offset:0                 // initC
_ds_load_b32 acc19, v109, offset:0                 // initC
_ds_load_b32 acc20, v109, offset:0                 // initC
_ds_load_b32 acc21, v109, offset:0                 // initC
_ds_load_b32 acc22, v109, offset:0                 // initC
_ds_load_b32 acc23, v109, offset:0                 // initC
_ds_load_b32 acc24, v109, offset:0                 // initC
_ds_load_b32 acc25, v109, offset:0                 // initC
_ds_load_b32 acc26, v109, offset:0                 // initC
_ds_load_b32 acc27, v109, offset:0                 // initC
_ds_load_b32 acc28, v109, offset:0                 // initC
_ds_load_b32 acc29, v109, offset:0                 // initC
_ds_load_b32 acc30, v109, offset:0                 // initC
_ds_load_b32 acc31, v109, offset:0                 // initC
_ds_load_b32 acc32, v109, offset:0                 // initC
_ds_load_b32 acc33, v109, offset:0                 // initC
_ds_load_b32 acc34, v109, offset:0                 // initC
_ds_load_b32 acc35, v109, offset:0                 // initC
_ds_load_b32 acc36, v109, offset:0                 // initC
_ds_load_b32 acc37, v109, offset:0                 // initC
_ds_load_b32 acc38, v109, offset:0                 // initC
_ds_load_b32 acc39, v109, offset:0                 // initC
_ds_load_b32 acc40, v109, offset:0                 // initC
_ds_load_b32 acc41, v109, offset:0                 // initC
_ds_load_b32 acc42, v109, offset:0                 // initC
_ds_load_b32 acc43, v109, offset:0                 // initC
_ds_load_b32 acc44, v109, offset:0                 // initC
_ds_load_b32 acc45, v109, offset:0                 // initC
_ds_load_b32 acc46, v109, offset:0                 // initC
_ds_load_b32 acc47, v109, offset:0                 // initC
_ds_load_b32 acc48, v109, offset:0                 // initC
_ds_load_b32 acc49, v109, offset:0                 // initC
_ds_load_b32 acc50, v109, offset:0                 // initC
_ds_load_b32 acc51, v109, offset:0                 // initC
_ds_load_b32 acc52, v109, offset:0                 // initC
_ds_load_b32 acc53, v109, offset:0                 // initC
_ds_load_b32 acc54, v109, offset:0                 // initC
_ds_load_b32 acc55, v109, offset:0                 // initC
_ds_load_b32 acc56, v109, offset:0                 // initC
_ds_load_b32 acc57, v109, offset:0                 // initC
_ds_load_b32 acc58, v109, offset:0                 // initC
_ds_load_b32 acc59, v109, offset:0                 // initC
_ds_load_b32 acc60, v109, offset:0                 // initC
_ds_load_b32 acc61, v109, offset:0                 // initC
_ds_load_b32 acc62, v109, offset:0                 // initC
_ds_load_b32 acc63, v109, offset:0                 // initC
_ds_load_b32 acc64, v109, offset:0                 // initC
_ds_load_b32 acc65, v109, offset:0                 // initC
_ds_load_b32 acc66, v109, offset:0                 // initC
_ds_load_b32 acc67, v109, offset:0                 // initC
_ds_load_b32 acc68, v109, offset:0                 // initC
_ds_load_b32 acc69, v109, offset:0                 // initC
_ds_load_b32 acc70, v109, offset:0                 // initC
_ds_load_b32 acc71, v109, offset:0                 // initC
_ds_load_b32 acc72, v109, offset:0                 // initC
_ds_load_b32 acc73, v109, offset:0                 // initC
_ds_load_b32 acc74, v109, offset:0                 // initC
_ds_load_b32 acc75, v109, offset:0                 // initC
_ds_load_b32 acc76, v109, offset:0                 // initC
_ds_load_b32 acc77, v109, offset:0                 // initC
_ds_load_b32 acc78, v109, offset:0                 // initC
_ds_load_b32 acc79, v109, offset:0                 // initC
_ds_load_b32 acc80, v109, offset:0                 // initC
_ds_load_b32 acc81, v109, offset:0                 // initC
_ds_load_b32 acc82, v109, offset:0                 // initC
_ds_load_b32 acc83, v109, offset:0                 // initC
_ds_load_b32 acc84, v109, offset:0                 // initC
_ds_load_b32 acc85, v109, offset:0                 // initC
_ds_load_b32 acc86, v109, offset:0                 // initC
_ds_load_b32 acc87, v109, offset:0                 // initC
_ds_load_b32 acc88, v109, offset:0                 // initC
_ds_load_b32 acc89, v109, offset:0                 // initC
_ds_load_b32 acc90, v109, offset:0                 // initC
_ds_load_b32 acc91, v109, offset:0                 // initC
_ds_load_b32 acc92, v109, offset:0                 // initC
_ds_load_b32 acc93, v109, offset:0                 // initC
_ds_load_b32 acc94, v109, offset:0                 // initC
_ds_load_b32 acc95, v109, offset:0                 // initC
_ds_load_b32 acc96, v109, offset:0                 // initC
_ds_load_b32 acc97, v109, offset:0                 // initC
_ds_load_b32 acc98, v109, offset:0                 // initC
_ds_load_b32 acc99, v109, offset:0                 // initC
_ds_load_b32 acc100, v109, offset:0                // initC
_ds_load_b32 acc101, v109, offset:0                // initC
_ds_load_b32 acc102, v109, offset:0                // initC
_ds_load_b32 acc103, v109, offset:0                // initC
_ds_load_b32 acc104, v109, offset:0                // initC
_ds_load_b32 acc105, v109, offset:0                // initC
_ds_load_b32 acc106, v109, offset:0                // initC
_ds_load_b32 acc107, v109, offset:0                // initC
_ds_load_b32 acc108, v109, offset:0                // initC
_ds_load_b32 acc109, v109, offset:0                // initC
_ds_load_b32 acc110, v109, offset:0                // initC
_ds_load_b32 acc111, v109, offset:0                // initC
_ds_load_b32 acc112, v109, offset:0                // initC
_ds_load_b32 acc113, v109, offset:0                // initC
_ds_load_b32 acc114, v109, offset:0                // initC
_ds_load_b32 acc115, v109, offset:0                // initC
_ds_load_b32 acc116, v109, offset:0                // initC
_ds_load_b32 acc117, v109, offset:0                // initC
_ds_load_b32 acc118, v109, offset:0                // initC
_ds_load_b32 acc119, v109, offset:0                // initC
_ds_load_b32 acc120, v109, offset:0                // initC
_ds_load_b32 acc121, v109, offset:0                // initC
_ds_load_b32 acc122, v109, offset:0                // initC
_ds_load_b32 acc123, v109, offset:0                // initC
_ds_load_b32 acc124, v109, offset:0                // initC
_ds_load_b32 acc125, v109, offset:0                // initC
_ds_load_b32 acc126, v109, offset:0                // initC
_ds_load_b32 acc127, v109, offset:0                // initC

s_cmp_eq_u32 s[sgprLoopCounterL], 0                // at last iteration?

/* after InitC, skip to end of prefetch last iter if numIter==0 */
s_cbranch_scc0 label_NoBranch_13                   // Only branch on scc1
s_getpc_B64 s[42:43]                               // addr of next instr
s_add_i32 s44, PrefetchGlobalLastIterEnd_5, 0x4    // target branch offset
s_add_u32 s42, s42, s44                            // add target branch offset
s_addc_u32 s43, s43, 0                             // add high and carry
s_setpc_b64 s[42:43]                               // branch to PrefetchGlobalLastIterEnd_5
label_NoBranch_13:

s_waitcnt vmcnt(0)                                 // lgkmcnt=-1 vmcnt=0 8wait for global read


/* local write a */
_ds_store_b128 v[vgprLocalWriteAddrA], v[vgprG2LA+0:vgprG2LA+0+3] offset:0 // lwoA_0_0_0_0 = (0*LSCA) + (0*LSPA)(*MT0I+PAD) = 0
_ds_store_b128 v[vgprLocalWriteAddrA], v[vgprG2LA+4:vgprG2LA+4+3] offset:4096 // lwoA_0_0_1_0 = (0*LSCA) + (1*LSPA)(*MT0I+PAD) = 4096
_ds_store_b128 v[vgprLocalWriteAddrA], v[vgprG2LA+8:vgprG2LA+8+3] offset:8192 // lwoA_0_0_2_0 = (0*LSCA) + (2*LSPA)(*MT0I+PAD) = 8192
_ds_store_b128 v[vgprLocalWriteAddrA], v[vgprG2LA+12:vgprG2LA+12+3] offset:12288 // lwoA_0_0_3_0 = (0*LSCA) + (3*LSPA)(*MT0I+PAD) = 12288

/* local write b */
_ds_store_b64 v[vgprLocalWriteAddrB], v[vgprG2LB+0:vgprG2LB+0+1] offset:0 // lwoB_0_0_0_0 = (0 + 0*LSCB)*(MT1J+PAD) + (0*LSPB) = 0
_ds_store_b64 v[vgprLocalWriteAddrB], v[vgprG2LB+2:vgprG2LB+2+1] offset:1024 // lwoB_0_1_0_0 = (1 + 0*LSCB)*(MT1J+PAD) + (0*LSPB) = 1024
_ds_store_b64 v[vgprLocalWriteAddrB], v[vgprG2LB+4:vgprG2LB+4+1] offset:256 // lwoB_0_0_1_0 = (0 + 0*LSCB)*(MT1J+PAD) + (1*LSPB) = 256
_ds_store_b64 v[vgprLocalWriteAddrB], v[vgprG2LB+6:vgprG2LB+6+1] offset:1280 // lwoB_0_1_1_0 = (1 + 0*LSCB)*(MT1J+PAD) + (1*LSPB) = 1280
_ds_store_b64 v[vgprLocalWriteAddrB], v[vgprG2LB+8:vgprG2LB+8+1] offset:512 // lwoB_0_0_2_0 = (0 + 0*LSCB)*(MT1J+PAD) + (2*LSPB) = 512
_ds_store_b64 v[vgprLocalWriteAddrB], v[vgprG2LB+10:vgprG2LB+10+1] offset:1536 // lwoB_0_1_2_0 = (1 + 0*LSCB)*(MT1J+PAD) + (2*LSPB) = 1536
_ds_store_b64 v[vgprLocalWriteAddrB], v[vgprG2LB+12:vgprG2LB+12+1] offset:768 // lwoB_0_0_3_0 = (0 + 0*LSCB)*(MT1J+PAD) + (3*LSPB) = 768
_ds_store_b64 v[vgprLocalWriteAddrB], v[vgprG2LB+14:vgprG2LB+14+1] offset:1792 // lwoB_0_1_3_0 = (1 + 0*LSCB)*(MT1J+PAD) + (3*LSPB) = 1792


/* local write swap a */


	;; [unrolled: 1-line block ×3, first 2 shown]
/* local write swap b */


	;; [unrolled: 1-line block ×4, first 2 shown]
s_cmp_eq_u32 s[sgprLoopCounterL] 0x1               // PGR=2 but only 1 loop
s_cbranch_scc1 label_0014                          // PGR=2 but only 1 loop


_buffer_load_b128 v[vgprG2LA+0:vgprG2LA+0+3], v[vgprGlobalReadOffsetA+0], s[sgprSrdA:sgprSrdA+3], 0, offen offset:0 // G -> Reg 0_0_0_0
_buffer_load_b128 v[vgprG2LA+4:vgprG2LA+4+3], v[vgprGlobalReadOffsetA+1], s[sgprSrdA:sgprSrdA+3], 0, offen offset:0 // G -> Reg 0_0_1_0
_buffer_load_b128 v[vgprG2LA+8:vgprG2LA+8+3], v[vgprGlobalReadOffsetA+2], s[sgprSrdA:sgprSrdA+3], 0, offen offset:0 // G -> Reg 0_0_2_0
_buffer_load_b128 v[vgprG2LA+12:vgprG2LA+12+3], v[vgprGlobalReadOffsetA+3], s[sgprSrdA:sgprSrdA+3], 0, offen offset:0 // G -> Reg 0_0_3_0


_buffer_load_b128 v[vgprG2LB+0:vgprG2LB+0+3], v[vgprGlobalReadOffsetB+0], s[sgprSrdB:sgprSrdB+3], 0, offen offset:0 // G -> Reg 0_0_0_0
_buffer_load_b128 v[vgprG2LB+4:vgprG2LB+4+3], v[vgprGlobalReadOffsetB+1], s[sgprSrdB:sgprSrdB+3], 0, offen offset:0 // G -> Reg 0_0_1_0
_buffer_load_b128 v[vgprG2LB+8:vgprG2LB+8+3], v[vgprGlobalReadOffsetB+2], s[sgprSrdB:sgprSrdB+3], 0, offen offset:0 // G -> Reg 0_0_2_0
_buffer_load_b128 v[vgprG2LB+12:vgprG2LB+12+3], v[vgprGlobalReadOffsetB+3], s[sgprSrdB:sgprSrdB+3], 0, offen offset:0 // G -> Reg 0_0_3_0

label_0014:                                        // 

s_waitcnt lgkmcnt(0)                               // lgkmcnt=0 vmcnt=-10prefetch wait for local write

// Skip force waitcnt0
s_barrier //


/* local read prefetch a */

_ds_load_b64 v[vgprValuA_X0_I0+0:vgprValuA_X0_I0+0+1], v[vgprLocalReadAddrA] offset:0 // L -> Reg lro=0 swapByteOffset=0 ti=64 vIdx=0 rIdx=0 oIdx=0 buffer=0 iui=0
_ds_load_b64 v[vgprValuA_X0_I0+2:vgprValuA_X0_I0+2+1], v[vgprLocalReadAddrA] offset:8 // L -> Reg lro=0 swapByteOffset=0 ti=64 vIdx=0 rIdx=0 oIdx=0 buffer=0 iui=0
	;; [unrolled: 1-line block ×4, first 2 shown]


/* local read prefetch b */

_ds_load_b64 v[vgprValuB_X0_I0+0:vgprValuB_X0_I0+0+1], v[vgprLocalReadAddrB] offset:0 // L -> Reg lro=0 swapByteOffset=0 ti=32 vIdx=0 rIdx=0 oIdx=0 buffer=0 iui=0
_ds_load_b64 v[vgprValuB_X0_I0+2:vgprValuB_X0_I0+2+1], v[vgprLocalReadAddrB] offset:256 // L -> Reg lro=0 swapByteOffset=0 ti=32 vIdx=1 rIdx=0 oIdx=0 buffer=0 iui=0
	;; [unrolled: 1-line block ×4, first 2 shown]


/* local read inc a */

/* N/A, lro->512 */
/* self.localReadDoCntA 1 self.localReadDoCntB 1 */


/* local read inc b */

/* N/A, lro->512 */
/* self.localReadDoCntA 1 self.localReadDoCntB 1 */


	;; [unrolled: 1-line block ×3, first 2 shown]
/******************************************/
/* Unrolled Loop(s) - Begin               */
/******************************************/

openLoopL_15:
s_cmp_eq_u32 s[sgprLoopCounterL], 0x1              // LoopCounterL < EndCounter
s_cbranch_scc1 label_0016                          // PGR=2 but only 1 loop, toPGR1
s_cmp_le_u32 s[sgprLoopCounterL], 0x2              // LoopCounterL < EndCounter
s_cbranch_scc1 LoopEndL_2                          // do not enter LoopL
LoopBeginL_1:


/******************************************/
/* Unrolled Loop 1/1 - Begin              */
/******************************************/

label_0017: // LoopCopy1 


/* Begin Each Unroll: Check VGPR.checkin for INT8 LW */


	;; [unrolled: 1-line block ×3, first 2 shown]
/* iter 0 */

/*  grEndMfmaIndex:6, lwStartMfmaIndex:17, lwEndMfmaIndex:55  */
/*  numMfmaForLR:6, barrierMfmaIndex:57, LocalWritePerMfma:0.185 */
/*  mfmaIndex:0  */
s_waitcnt lgkmcnt(0)                               // lgkmcnt=0 vmcnt=-1wait for prior local read local write old=0, new=0 newLW=0 newLR=0
v_mfma_f64_16x16x4f64 a[0+0:7+0], v[vgprValuB_X0_I0+0+0+0:vgprValuB_X0_I0+0+0+0+1], v[vgprValuA_X0_I0+0+0+0:vgprValuA_X0_I0+0+0+0+1], a[0:7]
/*  mfmaIndex:1  */
_ds_load_b64 v[vgprValuA_X1_I0+0:vgprValuA_X1_I0+0+1], v[vgprLocalReadAddrA] offset:4096 // L -> Reg lro=512 swapByteOffset=0 ti=64 vIdx=0 rIdx=0 oIdx=0 buffer=1 iui=0
_ds_load_b64 v[vgprValuB_X1_I0+0:vgprValuB_X1_I0+0+1], v[vgprLocalReadAddrB] offset:4096 // L -> Reg lro=512 swapByteOffset=0 ti=32 vIdx=0 rIdx=0 oIdx=0 buffer=1 iui=0

/* global read inc A loopL */
s_cmp_eq_u32 s[sgprLoopCounterL], s[sgprStaggerUIter] // Is this the wrapIter?
s_cselect_b32 s42, s[sgprWrapUA+0], s[sgprGlobalReadIncsA+0] // incLower <- ?
s_cselect_b32 s43, s[sgprWrapUA+1], 0              // incUpper <- ?
v_mfma_f64_16x16x4f64 a[8+0:15+0], v[vgprValuB_X0_I0+0+0+0:vgprValuB_X0_I0+0+0+0+1], v[vgprValuA_X0_I0+2+0+0:vgprValuA_X0_I0+2+0+0+1], a[8:15]
/*  mfmaIndex:2  */
_ds_load_b64 v[vgprValuA_X1_I0+2:vgprValuA_X1_I0+2+1], v[vgprLocalReadAddrA] offset:4104 // L -> Reg lro=512 swapByteOffset=0 ti=64 vIdx=0 rIdx=0 oIdx=0 buffer=1 iui=0
_ds_load_b64 v[vgprValuA_X1_I0+4:vgprValuA_X1_I0+4+1], v[vgprLocalReadAddrA] offset:4608 // L -> Reg lro=512 swapByteOffset=0 ti=64 vIdx=1 rIdx=0 oIdx=0 buffer=1 iui=0
s_add_u32 s[sgprSrdA+0], s[sgprSrdA+0], s42        // gra SRD += inc(lower)
s_addc_u32  s[sgprSrdA+1], s[sgprSrdA+1], s43      // gra SRD += inc(upper)
s_sub_u32 s[sgprShadowLimitA+0], s[sgprShadowLimitA+0], s42 // limit -= inc)
v_mfma_f64_16x16x4f64 a[16+0:23+0], v[vgprValuB_X0_I0+0+0+0:vgprValuB_X0_I0+0+0+0+1], v[vgprValuA_X0_I0+4+0+0:vgprValuA_X0_I0+4+0+0+1], a[16:23]
/*  mfmaIndex:3  */
_ds_load_b64 v[vgprValuA_X1_I0+6:vgprValuA_X1_I0+6+1], v[vgprLocalReadAddrA] offset:4616 // L -> Reg lro=512 swapByteOffset=0 ti=64 vIdx=1 rIdx=0 oIdx=0 buffer=1 iui=0
_ds_load_b64 v[vgprValuB_X1_I0+2:vgprValuB_X1_I0+2+1], v[vgprLocalReadAddrB] offset:4352 // L -> Reg lro=512 swapByteOffset=0 ti=32 vIdx=1 rIdx=0 oIdx=0 buffer=1 iui=0
s_subb_u32 s[sgprShadowLimitA+1], s[sgprShadowLimitA+1], s43 // limit -= inc)
s_cmp_eq_u32 s[sgprShadowLimitA+1], 0              // are we within 2^32?
s_cselect_b32 s[sgprSrdA+2], s[sgprShadowLimitA+0], BufferLimitA // Move shadow to real if we are within 2^32
v_mfma_f64_16x16x4f64 a[24+0:31+0], v[vgprValuB_X0_I0+0+0+0:vgprValuB_X0_I0+0+0+0+1], v[vgprValuA_X0_I0+6+0+0:vgprValuA_X0_I0+6+0+0+1], a[24:31]
/*  mfmaIndex:4  */
_ds_load_b64 v[vgprValuB_X1_I0+4:vgprValuB_X1_I0+4+1], v[vgprLocalReadAddrB] offset:4608 // L -> Reg lro=512 swapByteOffset=0 ti=32 vIdx=2 rIdx=0 oIdx=0 buffer=1 iui=0
_ds_load_b64 v[vgprValuB_X1_I0+6:vgprValuB_X1_I0+6+1], v[vgprLocalReadAddrB] offset:4864 // L -> Reg lro=512 swapByteOffset=0 ti=32 vIdx=3 rIdx=0 oIdx=0 buffer=1 iui=0
/* localReadsVacancy: latencyLeft 1 */

/* global read inc B loopL */
s_cmp_eq_u32 s[sgprLoopCounterL], s[sgprStaggerUIter] // Is this the wrapIter?
s_cselect_b32 s42, s[sgprWrapUB+0], s[sgprGlobalReadIncsB+0] // incLower <- ?
s_cselect_b32 s43, s[sgprWrapUB+1], 0              // incUpper <- ?
v_mfma_f64_16x16x4f64 a[56+0:63+0], v[vgprValuB_X0_I0+2+0+0:vgprValuB_X0_I0+2+0+0+1], v[vgprValuA_X0_I0+6+0+0:vgprValuA_X0_I0+6+0+0+1], a[56:63]
/*  mfmaIndex:5  */
/* localReadsVacancy: latencyLeft 5 */
_ds_load_b64 v[vgprValuA_X2_I0+0:vgprValuA_X2_I0+0+1], v[vgprLocalReadAddrA] offset:8192 // L -> Reg lro=1024 swapByteOffset=0 ti=64 vIdx=0 rIdx=0 oIdx=0 buffer=2 iui=0
_ds_load_b64 v[vgprValuB_X2_I0+0:vgprValuB_X2_I0+0+1], v[vgprLocalReadAddrB] offset:8192 // L -> Reg lro=1024 swapByteOffset=0 ti=32 vIdx=0 rIdx=0 oIdx=0 buffer=2 iui=0
s_add_u32 s[sgprSrdB+0], s[sgprSrdB+0], s42        // gra SRD += inc(lower)
s_addc_u32  s[sgprSrdB+1], s[sgprSrdB+1], s43      // gra SRD += inc(upper)
s_sub_u32 s[sgprShadowLimitB+0], s[sgprShadowLimitB+0], s42 // limit -= inc)
v_mfma_f64_16x16x4f64 a[48+0:55+0], v[vgprValuB_X0_I0+2+0+0:vgprValuB_X0_I0+2+0+0+1], v[vgprValuA_X0_I0+4+0+0:vgprValuA_X0_I0+4+0+0+1], a[48:55]
/*  mfmaIndex:6  */
/* localReadsVacancy: latencyLeft 5 */
_ds_load_b64 v[vgprValuA_X2_I0+2:vgprValuA_X2_I0+2+1], v[vgprLocalReadAddrA] offset:8200 // L -> Reg lro=1024 swapByteOffset=0 ti=64 vIdx=0 rIdx=0 oIdx=0 buffer=2 iui=0
_ds_load_b64 v[vgprValuA_X2_I0+4:vgprValuA_X2_I0+4+1], v[vgprLocalReadAddrA] offset:8704 // L -> Reg lro=1024 swapByteOffset=0 ti=64 vIdx=1 rIdx=0 oIdx=0 buffer=2 iui=0
s_subb_u32 s[sgprShadowLimitB+1], s[sgprShadowLimitB+1], s43 // limit -= inc)
s_cmp_eq_u32 s[sgprShadowLimitB+1], 0              // are we within 2^32?
s_cselect_b32 s[sgprSrdB+2], s[sgprShadowLimitB+0], BufferLimitB // Move shadow to real if we are within 2^32
v_mfma_f64_16x16x4f64 a[40+0:47+0], v[vgprValuB_X0_I0+2+0+0:vgprValuB_X0_I0+2+0+0+1], v[vgprValuA_X0_I0+2+0+0:vgprValuA_X0_I0+2+0+0+1], a[40:47]
/*  mfmaIndex:7  */
/* localReadsVacancy: latencyLeft 5 */
_ds_load_b64 v[vgprValuA_X2_I0+6:vgprValuA_X2_I0+6+1], v[vgprLocalReadAddrA] offset:8712 // L -> Reg lro=1024 swapByteOffset=0 ti=64 vIdx=1 rIdx=0 oIdx=0 buffer=2 iui=0
_ds_load_b64 v[vgprValuB_X2_I0+2:vgprValuB_X2_I0+2+1], v[vgprLocalReadAddrB] offset:8448 // L -> Reg lro=1024 swapByteOffset=0 ti=32 vIdx=1 rIdx=0 oIdx=0 buffer=2 iui=0
v_mfma_f64_16x16x4f64 a[32+0:39+0], v[vgprValuB_X0_I0+2+0+0:vgprValuB_X0_I0+2+0+0+1], v[vgprValuA_X0_I0+0+0+0:vgprValuA_X0_I0+0+0+0+1], a[32:39]
/*  mfmaIndex:8  */
/* localReadsVacancy: latencyLeft 5 */
_ds_load_b64 v[vgprValuB_X2_I0+4:vgprValuB_X2_I0+4+1], v[vgprLocalReadAddrB] offset:8704 // L -> Reg lro=1024 swapByteOffset=0 ti=32 vIdx=2 rIdx=0 oIdx=0 buffer=2 iui=0
_ds_load_b64 v[vgprValuB_X2_I0+6:vgprValuB_X2_I0+6+1], v[vgprLocalReadAddrB] offset:8960 // L -> Reg lro=1024 swapByteOffset=0 ti=32 vIdx=3 rIdx=0 oIdx=0 buffer=2 iui=0
v_mfma_f64_16x16x4f64 a[64+0:71+0], v[vgprValuB_X0_I0+4+0+0:vgprValuB_X0_I0+4+0+0+1], v[vgprValuA_X0_I0+0+0+0:vgprValuA_X0_I0+0+0+0+1], a[64:71]
/*  mfmaIndex:9  */
/* localReadsVacancy: latencyLeft 5 */
_ds_load_b64 v[vgprValuA_X3_I0+0:vgprValuA_X3_I0+0+1], v[vgprLocalReadAddrA] offset:12288 // L -> Reg lro=1536 swapByteOffset=0 ti=64 vIdx=0 rIdx=0 oIdx=0 buffer=3 iui=0
_ds_load_b64 v[vgprValuB_X3_I0+0:vgprValuB_X3_I0+0+1], v[vgprLocalReadAddrB] offset:12288 // L -> Reg lro=1536 swapByteOffset=0 ti=32 vIdx=0 rIdx=0 oIdx=0 buffer=3 iui=0
v_mfma_f64_16x16x4f64 a[72+0:79+0], v[vgprValuB_X0_I0+4+0+0:vgprValuB_X0_I0+4+0+0+1], v[vgprValuA_X0_I0+2+0+0:vgprValuA_X0_I0+2+0+0+1], a[72:79]
/*  mfmaIndex:10  */
/* localReadsVacancy: latencyLeft 5 */
_ds_load_b64 v[vgprValuA_X3_I0+2:vgprValuA_X3_I0+2+1], v[vgprLocalReadAddrA] offset:12296 // L -> Reg lro=1536 swapByteOffset=0 ti=64 vIdx=0 rIdx=0 oIdx=0 buffer=3 iui=0
_ds_load_b64 v[vgprValuA_X3_I0+4:vgprValuA_X3_I0+4+1], v[vgprLocalReadAddrA] offset:12800 // L -> Reg lro=1536 swapByteOffset=0 ti=64 vIdx=1 rIdx=0 oIdx=0 buffer=3 iui=0
v_mfma_f64_16x16x4f64 a[80+0:87+0], v[vgprValuB_X0_I0+4+0+0:vgprValuB_X0_I0+4+0+0+1], v[vgprValuA_X0_I0+4+0+0:vgprValuA_X0_I0+4+0+0+1], a[80:87]
/*  mfmaIndex:11  */
/* localReadsVacancy: latencyLeft 5 */
_ds_load_b64 v[vgprValuA_X3_I0+6:vgprValuA_X3_I0+6+1], v[vgprLocalReadAddrA] offset:12808 // L -> Reg lro=1536 swapByteOffset=0 ti=64 vIdx=1 rIdx=0 oIdx=0 buffer=3 iui=0
_ds_load_b64 v[vgprValuB_X3_I0+2:vgprValuB_X3_I0+2+1], v[vgprLocalReadAddrB] offset:12544 // L -> Reg lro=1536 swapByteOffset=0 ti=32 vIdx=1 rIdx=0 oIdx=0 buffer=3 iui=0
v_mfma_f64_16x16x4f64 a[88+0:95+0], v[vgprValuB_X0_I0+4+0+0:vgprValuB_X0_I0+4+0+0+1], v[vgprValuA_X0_I0+6+0+0:vgprValuA_X0_I0+6+0+0+1], a[88:95]
/*  mfmaIndex:12  */
/* localReadsVacancy: latencyLeft 5 */
_ds_load_b64 v[vgprValuB_X3_I0+4:vgprValuB_X3_I0+4+1], v[vgprLocalReadAddrB] offset:12800 // L -> Reg lro=1536 swapByteOffset=0 ti=32 vIdx=2 rIdx=0 oIdx=0 buffer=3 iui=0
_ds_load_b64 v[vgprValuB_X3_I0+6:vgprValuB_X3_I0+6+1], v[vgprLocalReadAddrB] offset:13056 // L -> Reg lro=1536 swapByteOffset=0 ti=32 vIdx=3 rIdx=0 oIdx=0 buffer=3 iui=0
v_mfma_f64_16x16x4f64 a[120+0:127+0], v[vgprValuB_X0_I0+6+0+0:vgprValuB_X0_I0+6+0+0+1], v[vgprValuA_X0_I0+6+0+0:vgprValuA_X0_I0+6+0+0+1], a[120:127]
/*  mfmaIndex:13  */
/* localReadsVacancy: latencyLeft 5 */
v_mfma_f64_16x16x4f64 a[112+0:119+0], v[vgprValuB_X0_I0+6+0+0:vgprValuB_X0_I0+6+0+0+1], v[vgprValuA_X0_I0+4+0+0:vgprValuA_X0_I0+4+0+0+1], a[112:119]
/*  mfmaIndex:14  */
/* localReadsVacancy: latencyLeft 5 */
v_mfma_f64_16x16x4f64 a[104+0:111+0], v[vgprValuB_X0_I0+6+0+0:vgprValuB_X0_I0+6+0+0+1], v[vgprValuA_X0_I0+2+0+0:vgprValuA_X0_I0+2+0+0+1], a[104:111]
/*  mfmaIndex:15  */
/* localReadsVacancy: latencyLeft 5 */
v_mfma_f64_16x16x4f64 a[96+0:103+0], v[vgprValuB_X0_I0+6+0+0:vgprValuB_X0_I0+6+0+0+1], v[vgprValuA_X0_I0+0+0+0:vgprValuA_X0_I0+0+0+0+1], a[96:103]
/* numPrefetchIter=0 */
/* dataAtIterA=-1 numReadsIterA=1 skipReadsIterA=1 readsPerIterA=4 */
/* dataAtIterB=-1 numReadsIterB=1 skipReadsIterB=1 readsPerIterB=4 */


/* iter 1 */

/*  grEndMfmaIndex:6, lwStartMfmaIndex:17, lwEndMfmaIndex:55  */
/*  numMfmaForLR:6, barrierMfmaIndex:57, LocalWritePerMfma:0.185 */
/*  mfmaIndex:16  */
/* localReadsVacancy: latencyLeft 5 */
/* 1 LDS buffer: read-sync-write */
s_waitcnt lgkmcnt(0)                               // 
s_barrier                                          // 
s_waitcnt lgkmcnt(15)                              // lgkmcnt=0 vmcnt=-1wait for prior local read local write old=8, new=8 newLW=0 newLR=0
v_mfma_f64_16x16x4f64 a[0+0:7+0], v[vgprValuB_X1_I0+0+0+0:vgprValuB_X1_I0+0+0+0+1], v[vgprValuA_X1_I0+0+0+0:vgprValuA_X1_I0+0+0+0+1], a[0:7]
/*  mfmaIndex:17  */
s_setprio 3                                        // store optimization
/* sched write - iter 1 writesPerItem=1 */
s_waitcnt vmcnt(0)                                 // lgkmcnt=-1 vmcnt=0wait for global read before writing to local
_ds_store_b128 v[vgprLocalWriteAddrA], v[vgprG2LA+0:vgprG2LA+0+3] offset:0 // lwoA_0_0_0_0 = (0*LSCA) + (0*LSPA)(*MT0I+PAD) = 0
v_mfma_f64_16x16x4f64 a[8+0:15+0], v[vgprValuB_X1_I0+0+0+0:vgprValuB_X1_I0+0+0+0+1], v[vgprValuA_X1_I0+2+0+0:vgprValuA_X1_I0+2+0+0+1], a[8:15]
/*  mfmaIndex:18  */
_buffer_load_b128 v[vgprG2LA+0:vgprG2LA+0+3], v[vgprGlobalReadOffsetA+0], s[sgprSrdA:sgprSrdA+3], 0, offen offset:0 // G -> Reg 0_0_0_0
v_mfma_f64_16x16x4f64 a[16+0:23+0], v[vgprValuB_X1_I0+0+0+0:vgprValuB_X1_I0+0+0+0+1], v[vgprValuA_X1_I0+4+0+0:vgprValuA_X1_I0+4+0+0+1], a[16:23]
/*  mfmaIndex:19  */
v_mfma_f64_16x16x4f64 a[24+0:31+0], v[vgprValuB_X1_I0+0+0+0:vgprValuB_X1_I0+0+0+0+1], v[vgprValuA_X1_I0+6+0+0:vgprValuA_X1_I0+6+0+0+1], a[24:31]
/*  mfmaIndex:20  */
	;; [unrolled: 2-line block ×4, first 2 shown]
/* sched write - iter 1 writesPerItem=1 */
s_waitcnt vmcnt(0)                                 // lgkmcnt=-1 vmcnt=0wait for global read before writing to local
_ds_store_b128 v[vgprLocalWriteAddrA], v[vgprG2LA+4:vgprG2LA+4+3] offset:4096 // lwoA_0_0_1_0 = (0*LSCA) + (1*LSPA)(*MT0I+PAD) = 4096
v_mfma_f64_16x16x4f64 a[40+0:47+0], v[vgprValuB_X1_I0+2+0+0:vgprValuB_X1_I0+2+0+0+1], v[vgprValuA_X1_I0+2+0+0:vgprValuA_X1_I0+2+0+0+1], a[40:47]
/*  mfmaIndex:23  */
_buffer_load_b128 v[vgprG2LA+4:vgprG2LA+4+3], v[vgprGlobalReadOffsetA+1], s[sgprSrdA:sgprSrdA+3], 0, offen offset:0 // G -> Reg 0_0_1_0
v_mfma_f64_16x16x4f64 a[32+0:39+0], v[vgprValuB_X1_I0+2+0+0:vgprValuB_X1_I0+2+0+0+1], v[vgprValuA_X1_I0+0+0+0:vgprValuA_X1_I0+0+0+0+1], a[32:39]
/*  mfmaIndex:24  */
v_mfma_f64_16x16x4f64 a[64+0:71+0], v[vgprValuB_X1_I0+4+0+0:vgprValuB_X1_I0+4+0+0+1], v[vgprValuA_X1_I0+0+0+0:vgprValuA_X1_I0+0+0+0+1], a[64:71]
/*  mfmaIndex:25  */
	;; [unrolled: 2-line block ×4, first 2 shown]
/* sched write - iter 1 writesPerItem=1 */
s_waitcnt vmcnt(0)                                 // lgkmcnt=-1 vmcnt=0wait for global read before writing to local
_ds_store_b128 v[vgprLocalWriteAddrA], v[vgprG2LA+8:vgprG2LA+8+3] offset:8192 // lwoA_0_0_2_0 = (0*LSCA) + (2*LSPA)(*MT0I+PAD) = 8192
v_mfma_f64_16x16x4f64 a[88+0:95+0], v[vgprValuB_X1_I0+4+0+0:vgprValuB_X1_I0+4+0+0+1], v[vgprValuA_X1_I0+6+0+0:vgprValuA_X1_I0+6+0+0+1], a[88:95]
/*  mfmaIndex:28  */
_buffer_load_b128 v[vgprG2LA+8:vgprG2LA+8+3], v[vgprGlobalReadOffsetA+2], s[sgprSrdA:sgprSrdA+3], 0, offen offset:0 // G -> Reg 0_0_2_0
v_mfma_f64_16x16x4f64 a[120+0:127+0], v[vgprValuB_X1_I0+6+0+0:vgprValuB_X1_I0+6+0+0+1], v[vgprValuA_X1_I0+6+0+0:vgprValuA_X1_I0+6+0+0+1], a[120:127]
/*  mfmaIndex:29  */
v_mfma_f64_16x16x4f64 a[112+0:119+0], v[vgprValuB_X1_I0+6+0+0:vgprValuB_X1_I0+6+0+0+1], v[vgprValuA_X1_I0+4+0+0:vgprValuA_X1_I0+4+0+0+1], a[112:119]
/*  mfmaIndex:30  */
	;; [unrolled: 2-line block ×3, first 2 shown]
v_mfma_f64_16x16x4f64 a[96+0:103+0], v[vgprValuB_X1_I0+6+0+0:vgprValuB_X1_I0+6+0+0+1], v[vgprValuA_X1_I0+0+0+0:vgprValuA_X1_I0+0+0+0+1], a[96:103]
/* numPrefetchIter=0 */
/* dataAtIterA=0 numReadsIterA=2 skipReadsIterA=1 readsPerIterA=4 */
/* dataAtIterB=0 numReadsIterB=2 skipReadsIterB=1 readsPerIterB=4 */


/* iter 2 (reset local read pointers iteration)  (swap local read pointers iteration)  */

/*  grEndMfmaIndex:6, lwStartMfmaIndex:17, lwEndMfmaIndex:55  */
/*  numMfmaForLR:6, barrierMfmaIndex:57, LocalWritePerMfma:0.185 */
/*  mfmaIndex:32  */
v_mfma_f64_16x16x4f64 a[0+0:7+0], v[vgprValuB_X2_I0+0+0+0:vgprValuB_X2_I0+0+0+0+1], v[vgprValuA_X2_I0+0+0+0:vgprValuA_X2_I0+0+0+0+1], a[0:7]
/*  mfmaIndex:33  */
/* sched write - iter 2 writesPerItem=1 */
s_waitcnt vmcnt(0)                                 // lgkmcnt=-1 vmcnt=0wait for global read before writing to local
_ds_store_b128 v[vgprLocalWriteAddrA], v[vgprG2LA+12:vgprG2LA+12+3] offset:12288 // lwoA_0_0_3_0 = (0*LSCA) + (3*LSPA)(*MT0I+PAD) = 12288
v_mfma_f64_16x16x4f64 a[8+0:15+0], v[vgprValuB_X2_I0+0+0+0:vgprValuB_X2_I0+0+0+0+1], v[vgprValuA_X2_I0+2+0+0:vgprValuA_X2_I0+2+0+0+1], a[8:15]
/*  mfmaIndex:34  */
_buffer_load_b128 v[vgprG2LA+12:vgprG2LA+12+3], v[vgprGlobalReadOffsetA+3], s[sgprSrdA:sgprSrdA+3], 0, offen offset:0 // G -> Reg 0_0_3_0
v_mfma_f64_16x16x4f64 a[16+0:23+0], v[vgprValuB_X2_I0+0+0+0:vgprValuB_X2_I0+0+0+0+1], v[vgprValuA_X2_I0+4+0+0:vgprValuA_X2_I0+4+0+0+1], a[16:23]
/*  mfmaIndex:35  */
v_mfma_f64_16x16x4f64 a[24+0:31+0], v[vgprValuB_X2_I0+0+0+0:vgprValuB_X2_I0+0+0+0+1], v[vgprValuA_X2_I0+6+0+0:vgprValuA_X2_I0+6+0+0+1], a[24:31]
/*  mfmaIndex:36  */
v_mfma_f64_16x16x4f64 a[56+0:63+0], v[vgprValuB_X2_I0+2+0+0:vgprValuB_X2_I0+2+0+0+1], v[vgprValuA_X2_I0+6+0+0:vgprValuA_X2_I0+6+0+0+1], a[56:63]
/*  mfmaIndex:37  */
v_mfma_f64_16x16x4f64 a[48+0:55+0], v[vgprValuB_X2_I0+2+0+0:vgprValuB_X2_I0+2+0+0+1], v[vgprValuA_X2_I0+4+0+0:vgprValuA_X2_I0+4+0+0+1], a[48:55]
/*  mfmaIndex:38  */
/* sched write - iter 2 writesPerItem=2 */
s_waitcnt vmcnt(0)                                 // lgkmcnt=-1 vmcnt=0wait for global read before writing to local
_ds_store_b64 v[vgprLocalWriteAddrB], v[vgprG2LB+0:vgprG2LB+0+1] offset:0 // lwoB_0_0_0_0 = (0 + 0*LSCB)*(MT1J+PAD) + (0*LSPB) = 0
_ds_store_b64 v[vgprLocalWriteAddrB], v[vgprG2LB+2:vgprG2LB+2+1] offset:1024 // lwoB_0_1_0_0 = (1 + 0*LSCB)*(MT1J+PAD) + (0*LSPB) = 1024
v_mfma_f64_16x16x4f64 a[40+0:47+0], v[vgprValuB_X2_I0+2+0+0:vgprValuB_X2_I0+2+0+0+1], v[vgprValuA_X2_I0+2+0+0:vgprValuA_X2_I0+2+0+0+1], a[40:47]
/*  mfmaIndex:39  */
_buffer_load_b128 v[vgprG2LB+0:vgprG2LB+0+3], v[vgprGlobalReadOffsetB+0], s[sgprSrdB:sgprSrdB+3], 0, offen offset:0 // G -> Reg 0_0_0_0
v_mfma_f64_16x16x4f64 a[32+0:39+0], v[vgprValuB_X2_I0+2+0+0:vgprValuB_X2_I0+2+0+0+1], v[vgprValuA_X2_I0+0+0+0:vgprValuA_X2_I0+0+0+0+1], a[32:39]
/*  mfmaIndex:40  */
v_mfma_f64_16x16x4f64 a[64+0:71+0], v[vgprValuB_X2_I0+4+0+0:vgprValuB_X2_I0+4+0+0+1], v[vgprValuA_X2_I0+0+0+0:vgprValuA_X2_I0+0+0+0+1], a[64:71]
/*  mfmaIndex:41  */
	;; [unrolled: 2-line block ×5, first 2 shown]
/* sched write - iter 2 writesPerItem=2 */
s_waitcnt vmcnt(0)                                 // lgkmcnt=-1 vmcnt=0wait for global read before writing to local
_ds_store_b64 v[vgprLocalWriteAddrB], v[vgprG2LB+4:vgprG2LB+4+1] offset:256 // lwoB_0_0_1_0 = (0 + 0*LSCB)*(MT1J+PAD) + (1*LSPB) = 256
_ds_store_b64 v[vgprLocalWriteAddrB], v[vgprG2LB+6:vgprG2LB+6+1] offset:1280 // lwoB_0_1_1_0 = (1 + 0*LSCB)*(MT1J+PAD) + (1*LSPB) = 1280
v_mfma_f64_16x16x4f64 a[120+0:127+0], v[vgprValuB_X2_I0+6+0+0:vgprValuB_X2_I0+6+0+0+1], v[vgprValuA_X2_I0+6+0+0:vgprValuA_X2_I0+6+0+0+1], a[120:127]
/*  mfmaIndex:45  */
_buffer_load_b128 v[vgprG2LB+4:vgprG2LB+4+3], v[vgprGlobalReadOffsetB+1], s[sgprSrdB:sgprSrdB+3], 0, offen offset:0 // G -> Reg 0_0_1_0
v_mfma_f64_16x16x4f64 a[112+0:119+0], v[vgprValuB_X2_I0+6+0+0:vgprValuB_X2_I0+6+0+0+1], v[vgprValuA_X2_I0+4+0+0:vgprValuA_X2_I0+4+0+0+1], a[112:119]
/*  mfmaIndex:46  */
v_mfma_f64_16x16x4f64 a[104+0:111+0], v[vgprValuB_X2_I0+6+0+0:vgprValuB_X2_I0+6+0+0+1], v[vgprValuA_X2_I0+2+0+0:vgprValuA_X2_I0+2+0+0+1], a[104:111]
/*  mfmaIndex:47  */

/* local read swap offsets a */

/* local read swap offsets b */

/* local read init pointers a */

/* localReadInitPointers */

/* local read init pointers b */

/* localReadInitPointers */
v_mfma_f64_16x16x4f64 a[96+0:103+0], v[vgprValuB_X2_I0+6+0+0:vgprValuB_X2_I0+6+0+0+1], v[vgprValuA_X2_I0+0+0+0:vgprValuA_X2_I0+0+0+0+1], a[96:103]


/* iter 3 (swap and reset local write pointers iteration)  */

/*  grEndMfmaIndex:6, lwStartMfmaIndex:17, lwEndMfmaIndex:55  */
/*  numMfmaForLR:6, barrierMfmaIndex:57, LocalWritePerMfma:0.185 */
/*  mfmaIndex:48  */
v_mfma_f64_16x16x4f64 a[0+0:7+0], v[vgprValuB_X3_I0+0+0+0:vgprValuB_X3_I0+0+0+0+1], v[vgprValuA_X3_I0+0+0+0:vgprValuA_X3_I0+0+0+0+1], a[0:7]
/*  mfmaIndex:49  */
/* sched write - iter 3 writesPerItem=2 */
s_waitcnt vmcnt(0)                                 // lgkmcnt=-1 vmcnt=0wait for global read before writing to local
_ds_store_b64 v[vgprLocalWriteAddrB], v[vgprG2LB+8:vgprG2LB+8+1] offset:512 // lwoB_0_0_2_0 = (0 + 0*LSCB)*(MT1J+PAD) + (2*LSPB) = 512
_ds_store_b64 v[vgprLocalWriteAddrB], v[vgprG2LB+10:vgprG2LB+10+1] offset:1536 // lwoB_0_1_2_0 = (1 + 0*LSCB)*(MT1J+PAD) + (2*LSPB) = 1536
v_mfma_f64_16x16x4f64 a[8+0:15+0], v[vgprValuB_X3_I0+0+0+0:vgprValuB_X3_I0+0+0+0+1], v[vgprValuA_X3_I0+2+0+0:vgprValuA_X3_I0+2+0+0+1], a[8:15]
/*  mfmaIndex:50  */
_buffer_load_b128 v[vgprG2LB+8:vgprG2LB+8+3], v[vgprGlobalReadOffsetB+2], s[sgprSrdB:sgprSrdB+3], 0, offen offset:0 // G -> Reg 0_0_2_0
v_mfma_f64_16x16x4f64 a[16+0:23+0], v[vgprValuB_X3_I0+0+0+0:vgprValuB_X3_I0+0+0+0+1], v[vgprValuA_X3_I0+4+0+0:vgprValuA_X3_I0+4+0+0+1], a[16:23]
/*  mfmaIndex:51  */
v_mfma_f64_16x16x4f64 a[24+0:31+0], v[vgprValuB_X3_I0+0+0+0:vgprValuB_X3_I0+0+0+0+1], v[vgprValuA_X3_I0+6+0+0:vgprValuA_X3_I0+6+0+0+1], a[24:31]
/*  mfmaIndex:52  */
	;; [unrolled: 2-line block ×4, first 2 shown]
/* sched write - iter 3 writesPerItem=2 */
s_waitcnt vmcnt(0)                                 // lgkmcnt=-1 vmcnt=0wait for global read before writing to local
_ds_store_b64 v[vgprLocalWriteAddrB], v[vgprG2LB+12:vgprG2LB+12+1] offset:768 // lwoB_0_0_3_0 = (0 + 0*LSCB)*(MT1J+PAD) + (3*LSPB) = 768
_ds_store_b64 v[vgprLocalWriteAddrB], v[vgprG2LB+14:vgprG2LB+14+1] offset:1792 // lwoB_0_1_3_0 = (1 + 0*LSCB)*(MT1J+PAD) + (3*LSPB) = 1792
v_mfma_f64_16x16x4f64 a[40+0:47+0], v[vgprValuB_X3_I0+2+0+0:vgprValuB_X3_I0+2+0+0+1], v[vgprValuA_X3_I0+2+0+0:vgprValuA_X3_I0+2+0+0+1], a[40:47]
/*  mfmaIndex:55  */
_buffer_load_b128 v[vgprG2LB+12:vgprG2LB+12+3], v[vgprGlobalReadOffsetB+3], s[sgprSrdB:sgprSrdB+3], 0, offen offset:0 // G -> Reg 0_0_3_0

/* local write swap offsets a */

/* local write swap offsets b */
v_mfma_f64_16x16x4f64 a[32+0:39+0], v[vgprValuB_X3_I0+2+0+0:vgprValuB_X3_I0+2+0+0+1], v[vgprValuA_X3_I0+0+0+0:vgprValuA_X3_I0+0+0+0+1], a[32:39]
/*  mfmaIndex:56  */
v_mfma_f64_16x16x4f64 a[64+0:71+0], v[vgprValuB_X3_I0+4+0+0:vgprValuB_X3_I0+4+0+0+1], v[vgprValuA_X3_I0+0+0+0:vgprValuA_X3_I0+0+0+0+1], a[64:71]
s_setprio 0                                        // store optimization
/*  mfmaIndex:57  */
s_waitcnt lgkmcnt(0)                               // lgkmcnt=0 vmcnt=-13wait for local write
// Skip force waitcnt0
s_barrier //
v_mfma_f64_16x16x4f64 a[72+0:79+0], v[vgprValuB_X3_I0+4+0+0:vgprValuB_X3_I0+4+0+0+1], v[vgprValuA_X3_I0+2+0+0:vgprValuA_X3_I0+2+0+0+1], a[72:79]
/*  mfmaIndex:58  */
s_setprio 3                                        // store optimization
_ds_load_b64 v[vgprValuA_X0_I0+0:vgprValuA_X0_I0+0+1], v[vgprLocalReadAddrA] offset:0 // L -> Reg lro=0 swapByteOffset=0 ti=64 vIdx=0 rIdx=0 oIdx=0 buffer=0 iui=0
_ds_load_b64 v[vgprValuB_X0_I0+0:vgprValuB_X0_I0+0+1], v[vgprLocalReadAddrB] offset:0 // L -> Reg lro=0 swapByteOffset=0 ti=32 vIdx=0 rIdx=0 oIdx=0 buffer=0 iui=0
v_mfma_f64_16x16x4f64 a[80+0:87+0], v[vgprValuB_X3_I0+4+0+0:vgprValuB_X3_I0+4+0+0+1], v[vgprValuA_X3_I0+4+0+0:vgprValuA_X3_I0+4+0+0+1], a[80:87]
/*  mfmaIndex:59  */
_ds_load_b64 v[vgprValuA_X0_I0+2:vgprValuA_X0_I0+2+1], v[vgprLocalReadAddrA] offset:8 // L -> Reg lro=0 swapByteOffset=0 ti=64 vIdx=0 rIdx=0 oIdx=0 buffer=0 iui=0
_ds_load_b64 v[vgprValuA_X0_I0+4:vgprValuA_X0_I0+4+1], v[vgprLocalReadAddrA] offset:512 // L -> Reg lro=0 swapByteOffset=0 ti=64 vIdx=1 rIdx=0 oIdx=0 buffer=0 iui=0
v_mfma_f64_16x16x4f64 a[88+0:95+0], v[vgprValuB_X3_I0+4+0+0:vgprValuB_X3_I0+4+0+0+1], v[vgprValuA_X3_I0+6+0+0:vgprValuA_X3_I0+6+0+0+1], a[88:95]
/*  mfmaIndex:60  */
_ds_load_b64 v[vgprValuA_X0_I0+6:vgprValuA_X0_I0+6+1], v[vgprLocalReadAddrA] offset:520 // L -> Reg lro=0 swapByteOffset=0 ti=64 vIdx=1 rIdx=0 oIdx=0 buffer=0 iui=0
_ds_load_b64 v[vgprValuB_X0_I0+2:vgprValuB_X0_I0+2+1], v[vgprLocalReadAddrB] offset:256 // L -> Reg lro=0 swapByteOffset=0 ti=32 vIdx=1 rIdx=0 oIdx=0 buffer=0 iui=0
v_mfma_f64_16x16x4f64 a[120+0:127+0], v[vgprValuB_X3_I0+6+0+0:vgprValuB_X3_I0+6+0+0+1], v[vgprValuA_X3_I0+6+0+0:vgprValuA_X3_I0+6+0+0+1], a[120:127]
/*  mfmaIndex:61  */
_ds_load_b64 v[vgprValuB_X0_I0+4:vgprValuB_X0_I0+4+1], v[vgprLocalReadAddrB] offset:512 // L -> Reg lro=0 swapByteOffset=0 ti=32 vIdx=2 rIdx=0 oIdx=0 buffer=0 iui=0
_ds_load_b64 v[vgprValuB_X0_I0+6:vgprValuB_X0_I0+6+1], v[vgprLocalReadAddrB] offset:768 // L -> Reg lro=0 swapByteOffset=0 ti=32 vIdx=3 rIdx=0 oIdx=0 buffer=0 iui=0
v_mfma_f64_16x16x4f64 a[112+0:119+0], v[vgprValuB_X3_I0+6+0+0:vgprValuB_X3_I0+6+0+0+1], v[vgprValuA_X3_I0+4+0+0:vgprValuA_X3_I0+4+0+0+1], a[112:119]
/*  mfmaIndex:62  */
v_mfma_f64_16x16x4f64 a[104+0:111+0], v[vgprValuB_X3_I0+6+0+0:vgprValuB_X3_I0+6+0+0+1], v[vgprValuA_X3_I0+2+0+0:vgprValuA_X3_I0+2+0+0+1], a[104:111]
/*  mfmaIndex:63  */
v_mfma_f64_16x16x4f64 a[96+0:103+0], v[vgprValuB_X3_I0+6+0+0:vgprValuB_X3_I0+6+0+0+1], v[vgprValuA_X3_I0+0+0+0:vgprValuA_X3_I0+0+0+0+1], a[96:103]
s_setprio 0                                        // store optimization


/******************************************/
/* Unrolled Loop - End                    */
/******************************************/


/* closeLoop loopL finalLoop=1 tailLoop=0 */
s_sub_u32 s[sgprLoopCounterL], s[sgprLoopCounterL], 1 // dec counterL
s_cmp_eq_i32 s[sgprLoopCounterL], 0x2              // counterL==2
s_cbranch_scc0 LoopBeginL_1                        // restart LoopL
LoopEndL_2:


/* Before NLL: Check VGPR.checkin for INT8 LW */


/******************************************/
/* Ord. NoGlobalLoadLoop - Begin                                      */
/******************************************/


	;; [unrolled: 1-line block ×3, first 2 shown]
/* iter 0 */

/*  grEndMfmaIndex:6, lwStartMfmaIndex:17, lwEndMfmaIndex:55  */
/*  numMfmaForLR:6, barrierMfmaIndex:57, LocalWritePerMfma:0.185 */
/*  mfmaIndex:0  */
s_waitcnt lgkmcnt(0)                               // lgkmcnt=0 vmcnt=-1wait for prior local read local write old=0, new=0 newLW=0 newLR=0
v_mfma_f64_16x16x4f64 a[0+0:7+0], v[vgprValuB_X0_I0+0+0+0:vgprValuB_X0_I0+0+0+0+1], v[vgprValuA_X0_I0+0+0+0:vgprValuA_X0_I0+0+0+0+1], a[0:7]
/*  mfmaIndex:1  */
_ds_load_b64 v[vgprValuA_X1_I0+0:vgprValuA_X1_I0+0+1], v[vgprLocalReadAddrA] offset:4096 // L -> Reg lro=512 swapByteOffset=0 ti=64 vIdx=0 rIdx=0 oIdx=0 buffer=1 iui=0
_ds_load_b64 v[vgprValuB_X1_I0+0:vgprValuB_X1_I0+0+1], v[vgprLocalReadAddrB] offset:4096 // L -> Reg lro=512 swapByteOffset=0 ti=32 vIdx=0 rIdx=0 oIdx=0 buffer=1 iui=0

/* global read inc A loopL */
s_cmp_eq_u32 s[sgprLoopCounterL], s[sgprStaggerUIter] // Is this the wrapIter?
s_cselect_b32 s42, s[sgprWrapUA+0], s[sgprGlobalReadIncsA+0] // incLower <- ?
s_cselect_b32 s43, s[sgprWrapUA+1], 0              // incUpper <- ?
v_mfma_f64_16x16x4f64 a[8+0:15+0], v[vgprValuB_X0_I0+0+0+0:vgprValuB_X0_I0+0+0+0+1], v[vgprValuA_X0_I0+2+0+0:vgprValuA_X0_I0+2+0+0+1], a[8:15]
/*  mfmaIndex:2  */
_ds_load_b64 v[vgprValuA_X1_I0+2:vgprValuA_X1_I0+2+1], v[vgprLocalReadAddrA] offset:4104 // L -> Reg lro=512 swapByteOffset=0 ti=64 vIdx=0 rIdx=0 oIdx=0 buffer=1 iui=0
_ds_load_b64 v[vgprValuA_X1_I0+4:vgprValuA_X1_I0+4+1], v[vgprLocalReadAddrA] offset:4608 // L -> Reg lro=512 swapByteOffset=0 ti=64 vIdx=1 rIdx=0 oIdx=0 buffer=1 iui=0
s_add_u32 s[sgprSrdA+0], s[sgprSrdA+0], s42        // gra SRD += inc(lower)
s_addc_u32  s[sgprSrdA+1], s[sgprSrdA+1], s43      // gra SRD += inc(upper)
s_sub_u32 s[sgprShadowLimitA+0], s[sgprShadowLimitA+0], s42 // limit -= inc)
v_mfma_f64_16x16x4f64 a[16+0:23+0], v[vgprValuB_X0_I0+0+0+0:vgprValuB_X0_I0+0+0+0+1], v[vgprValuA_X0_I0+4+0+0:vgprValuA_X0_I0+4+0+0+1], a[16:23]
/*  mfmaIndex:3  */
_ds_load_b64 v[vgprValuA_X1_I0+6:vgprValuA_X1_I0+6+1], v[vgprLocalReadAddrA] offset:4616 // L -> Reg lro=512 swapByteOffset=0 ti=64 vIdx=1 rIdx=0 oIdx=0 buffer=1 iui=0
_ds_load_b64 v[vgprValuB_X1_I0+2:vgprValuB_X1_I0+2+1], v[vgprLocalReadAddrB] offset:4352 // L -> Reg lro=512 swapByteOffset=0 ti=32 vIdx=1 rIdx=0 oIdx=0 buffer=1 iui=0
s_subb_u32 s[sgprShadowLimitA+1], s[sgprShadowLimitA+1], s43 // limit -= inc)
s_cmp_eq_u32 s[sgprShadowLimitA+1], 0              // are we within 2^32?
s_cselect_b32 s[sgprSrdA+2], s[sgprShadowLimitA+0], BufferLimitA // Move shadow to real if we are within 2^32
v_mfma_f64_16x16x4f64 a[24+0:31+0], v[vgprValuB_X0_I0+0+0+0:vgprValuB_X0_I0+0+0+0+1], v[vgprValuA_X0_I0+6+0+0:vgprValuA_X0_I0+6+0+0+1], a[24:31]
/*  mfmaIndex:4  */
_ds_load_b64 v[vgprValuB_X1_I0+4:vgprValuB_X1_I0+4+1], v[vgprLocalReadAddrB] offset:4608 // L -> Reg lro=512 swapByteOffset=0 ti=32 vIdx=2 rIdx=0 oIdx=0 buffer=1 iui=0
_ds_load_b64 v[vgprValuB_X1_I0+6:vgprValuB_X1_I0+6+1], v[vgprLocalReadAddrB] offset:4864 // L -> Reg lro=512 swapByteOffset=0 ti=32 vIdx=3 rIdx=0 oIdx=0 buffer=1 iui=0
/* localReadsVacancy: latencyLeft 1 */

/* global read inc B loopL */
s_cmp_eq_u32 s[sgprLoopCounterL], s[sgprStaggerUIter] // Is this the wrapIter?
s_cselect_b32 s42, s[sgprWrapUB+0], s[sgprGlobalReadIncsB+0] // incLower <- ?
s_cselect_b32 s43, s[sgprWrapUB+1], 0              // incUpper <- ?
v_mfma_f64_16x16x4f64 a[56+0:63+0], v[vgprValuB_X0_I0+2+0+0:vgprValuB_X0_I0+2+0+0+1], v[vgprValuA_X0_I0+6+0+0:vgprValuA_X0_I0+6+0+0+1], a[56:63]
/*  mfmaIndex:5  */
/* localReadsVacancy: latencyLeft 5 */
_ds_load_b64 v[vgprValuA_X2_I0+0:vgprValuA_X2_I0+0+1], v[vgprLocalReadAddrA] offset:8192 // L -> Reg lro=1024 swapByteOffset=0 ti=64 vIdx=0 rIdx=0 oIdx=0 buffer=2 iui=0
_ds_load_b64 v[vgprValuB_X2_I0+0:vgprValuB_X2_I0+0+1], v[vgprLocalReadAddrB] offset:8192 // L -> Reg lro=1024 swapByteOffset=0 ti=32 vIdx=0 rIdx=0 oIdx=0 buffer=2 iui=0
s_add_u32 s[sgprSrdB+0], s[sgprSrdB+0], s42        // gra SRD += inc(lower)
s_addc_u32  s[sgprSrdB+1], s[sgprSrdB+1], s43      // gra SRD += inc(upper)
s_sub_u32 s[sgprShadowLimitB+0], s[sgprShadowLimitB+0], s42 // limit -= inc)
v_mfma_f64_16x16x4f64 a[48+0:55+0], v[vgprValuB_X0_I0+2+0+0:vgprValuB_X0_I0+2+0+0+1], v[vgprValuA_X0_I0+4+0+0:vgprValuA_X0_I0+4+0+0+1], a[48:55]
/*  mfmaIndex:6  */
/* localReadsVacancy: latencyLeft 5 */
_ds_load_b64 v[vgprValuA_X2_I0+2:vgprValuA_X2_I0+2+1], v[vgprLocalReadAddrA] offset:8200 // L -> Reg lro=1024 swapByteOffset=0 ti=64 vIdx=0 rIdx=0 oIdx=0 buffer=2 iui=0
_ds_load_b64 v[vgprValuA_X2_I0+4:vgprValuA_X2_I0+4+1], v[vgprLocalReadAddrA] offset:8704 // L -> Reg lro=1024 swapByteOffset=0 ti=64 vIdx=1 rIdx=0 oIdx=0 buffer=2 iui=0
s_subb_u32 s[sgprShadowLimitB+1], s[sgprShadowLimitB+1], s43 // limit -= inc)
s_cmp_eq_u32 s[sgprShadowLimitB+1], 0              // are we within 2^32?
s_cselect_b32 s[sgprSrdB+2], s[sgprShadowLimitB+0], BufferLimitB // Move shadow to real if we are within 2^32
v_mfma_f64_16x16x4f64 a[40+0:47+0], v[vgprValuB_X0_I0+2+0+0:vgprValuB_X0_I0+2+0+0+1], v[vgprValuA_X0_I0+2+0+0:vgprValuA_X0_I0+2+0+0+1], a[40:47]
/*  mfmaIndex:7  */
/* localReadsVacancy: latencyLeft 5 */
_ds_load_b64 v[vgprValuA_X2_I0+6:vgprValuA_X2_I0+6+1], v[vgprLocalReadAddrA] offset:8712 // L -> Reg lro=1024 swapByteOffset=0 ti=64 vIdx=1 rIdx=0 oIdx=0 buffer=2 iui=0
_ds_load_b64 v[vgprValuB_X2_I0+2:vgprValuB_X2_I0+2+1], v[vgprLocalReadAddrB] offset:8448 // L -> Reg lro=1024 swapByteOffset=0 ti=32 vIdx=1 rIdx=0 oIdx=0 buffer=2 iui=0
v_mfma_f64_16x16x4f64 a[32+0:39+0], v[vgprValuB_X0_I0+2+0+0:vgprValuB_X0_I0+2+0+0+1], v[vgprValuA_X0_I0+0+0+0:vgprValuA_X0_I0+0+0+0+1], a[32:39]
/*  mfmaIndex:8  */
/* localReadsVacancy: latencyLeft 5 */
_ds_load_b64 v[vgprValuB_X2_I0+4:vgprValuB_X2_I0+4+1], v[vgprLocalReadAddrB] offset:8704 // L -> Reg lro=1024 swapByteOffset=0 ti=32 vIdx=2 rIdx=0 oIdx=0 buffer=2 iui=0
_ds_load_b64 v[vgprValuB_X2_I0+6:vgprValuB_X2_I0+6+1], v[vgprLocalReadAddrB] offset:8960 // L -> Reg lro=1024 swapByteOffset=0 ti=32 vIdx=3 rIdx=0 oIdx=0 buffer=2 iui=0
v_mfma_f64_16x16x4f64 a[64+0:71+0], v[vgprValuB_X0_I0+4+0+0:vgprValuB_X0_I0+4+0+0+1], v[vgprValuA_X0_I0+0+0+0:vgprValuA_X0_I0+0+0+0+1], a[64:71]
/*  mfmaIndex:9  */
/* localReadsVacancy: latencyLeft 5 */
_ds_load_b64 v[vgprValuA_X3_I0+0:vgprValuA_X3_I0+0+1], v[vgprLocalReadAddrA] offset:12288 // L -> Reg lro=1536 swapByteOffset=0 ti=64 vIdx=0 rIdx=0 oIdx=0 buffer=3 iui=0
_ds_load_b64 v[vgprValuB_X3_I0+0:vgprValuB_X3_I0+0+1], v[vgprLocalReadAddrB] offset:12288 // L -> Reg lro=1536 swapByteOffset=0 ti=32 vIdx=0 rIdx=0 oIdx=0 buffer=3 iui=0
v_mfma_f64_16x16x4f64 a[72+0:79+0], v[vgprValuB_X0_I0+4+0+0:vgprValuB_X0_I0+4+0+0+1], v[vgprValuA_X0_I0+2+0+0:vgprValuA_X0_I0+2+0+0+1], a[72:79]
/*  mfmaIndex:10  */
/* localReadsVacancy: latencyLeft 5 */
_ds_load_b64 v[vgprValuA_X3_I0+2:vgprValuA_X3_I0+2+1], v[vgprLocalReadAddrA] offset:12296 // L -> Reg lro=1536 swapByteOffset=0 ti=64 vIdx=0 rIdx=0 oIdx=0 buffer=3 iui=0
_ds_load_b64 v[vgprValuA_X3_I0+4:vgprValuA_X3_I0+4+1], v[vgprLocalReadAddrA] offset:12800 // L -> Reg lro=1536 swapByteOffset=0 ti=64 vIdx=1 rIdx=0 oIdx=0 buffer=3 iui=0
v_mfma_f64_16x16x4f64 a[80+0:87+0], v[vgprValuB_X0_I0+4+0+0:vgprValuB_X0_I0+4+0+0+1], v[vgprValuA_X0_I0+4+0+0:vgprValuA_X0_I0+4+0+0+1], a[80:87]
/*  mfmaIndex:11  */
/* localReadsVacancy: latencyLeft 5 */
_ds_load_b64 v[vgprValuA_X3_I0+6:vgprValuA_X3_I0+6+1], v[vgprLocalReadAddrA] offset:12808 // L -> Reg lro=1536 swapByteOffset=0 ti=64 vIdx=1 rIdx=0 oIdx=0 buffer=3 iui=0
_ds_load_b64 v[vgprValuB_X3_I0+2:vgprValuB_X3_I0+2+1], v[vgprLocalReadAddrB] offset:12544 // L -> Reg lro=1536 swapByteOffset=0 ti=32 vIdx=1 rIdx=0 oIdx=0 buffer=3 iui=0
v_mfma_f64_16x16x4f64 a[88+0:95+0], v[vgprValuB_X0_I0+4+0+0:vgprValuB_X0_I0+4+0+0+1], v[vgprValuA_X0_I0+6+0+0:vgprValuA_X0_I0+6+0+0+1], a[88:95]
/*  mfmaIndex:12  */
/* localReadsVacancy: latencyLeft 5 */
_ds_load_b64 v[vgprValuB_X3_I0+4:vgprValuB_X3_I0+4+1], v[vgprLocalReadAddrB] offset:12800 // L -> Reg lro=1536 swapByteOffset=0 ti=32 vIdx=2 rIdx=0 oIdx=0 buffer=3 iui=0
_ds_load_b64 v[vgprValuB_X3_I0+6:vgprValuB_X3_I0+6+1], v[vgprLocalReadAddrB] offset:13056 // L -> Reg lro=1536 swapByteOffset=0 ti=32 vIdx=3 rIdx=0 oIdx=0 buffer=3 iui=0
v_mfma_f64_16x16x4f64 a[120+0:127+0], v[vgprValuB_X0_I0+6+0+0:vgprValuB_X0_I0+6+0+0+1], v[vgprValuA_X0_I0+6+0+0:vgprValuA_X0_I0+6+0+0+1], a[120:127]
/*  mfmaIndex:13  */
/* localReadsVacancy: latencyLeft 5 */
v_mfma_f64_16x16x4f64 a[112+0:119+0], v[vgprValuB_X0_I0+6+0+0:vgprValuB_X0_I0+6+0+0+1], v[vgprValuA_X0_I0+4+0+0:vgprValuA_X0_I0+4+0+0+1], a[112:119]
/*  mfmaIndex:14  */
/* localReadsVacancy: latencyLeft 5 */
v_mfma_f64_16x16x4f64 a[104+0:111+0], v[vgprValuB_X0_I0+6+0+0:vgprValuB_X0_I0+6+0+0+1], v[vgprValuA_X0_I0+2+0+0:vgprValuA_X0_I0+2+0+0+1], a[104:111]
/*  mfmaIndex:15  */
/* localReadsVacancy: latencyLeft 5 */
v_mfma_f64_16x16x4f64 a[96+0:103+0], v[vgprValuB_X0_I0+6+0+0:vgprValuB_X0_I0+6+0+0+1], v[vgprValuA_X0_I0+0+0+0:vgprValuA_X0_I0+0+0+0+1], a[96:103]
/* numPrefetchIter=0 */
/* dataAtIterA=-1 numReadsIterA=1 skipReadsIterA=1 readsPerIterA=4 */
/* dataAtIterB=-1 numReadsIterB=1 skipReadsIterB=1 readsPerIterB=4 */


/* iter 1 */

/*  grEndMfmaIndex:6, lwStartMfmaIndex:17, lwEndMfmaIndex:55  */
/*  numMfmaForLR:6, barrierMfmaIndex:57, LocalWritePerMfma:0.185 */
/*  mfmaIndex:16  */
/* localReadsVacancy: latencyLeft 5 */
/* 1 LDS buffer: read-sync-write */
s_waitcnt lgkmcnt(0)                               // 
s_barrier                                          // 
s_waitcnt lgkmcnt(15)                              // lgkmcnt=0 vmcnt=-1wait for prior local read local write old=8, new=8 newLW=0 newLR=0
v_mfma_f64_16x16x4f64 a[0+0:7+0], v[vgprValuB_X1_I0+0+0+0:vgprValuB_X1_I0+0+0+0+1], v[vgprValuA_X1_I0+0+0+0:vgprValuA_X1_I0+0+0+0+1], a[0:7]
/*  mfmaIndex:17  */
s_setprio 3                                        // store optimization
/* sched write - iter 1 writesPerItem=1 */
s_waitcnt vmcnt(0)                                 // lgkmcnt=-1 vmcnt=0wait for global read before writing to local
_ds_store_b128 v[vgprLocalWriteAddrA], v[vgprG2LA+0:vgprG2LA+0+3] offset:0 // lwoA_0_0_0_0 = (0*LSCA) + (0*LSPA)(*MT0I+PAD) = 0
v_mfma_f64_16x16x4f64 a[8+0:15+0], v[vgprValuB_X1_I0+0+0+0:vgprValuB_X1_I0+0+0+0+1], v[vgprValuA_X1_I0+2+0+0:vgprValuA_X1_I0+2+0+0+1], a[8:15]
/*  mfmaIndex:18  */
v_mfma_f64_16x16x4f64 a[16+0:23+0], v[vgprValuB_X1_I0+0+0+0:vgprValuB_X1_I0+0+0+0+1], v[vgprValuA_X1_I0+4+0+0:vgprValuA_X1_I0+4+0+0+1], a[16:23]
/*  mfmaIndex:19  */
	;; [unrolled: 2-line block ×5, first 2 shown]
/* sched write - iter 1 writesPerItem=1 */
s_waitcnt vmcnt(0)                                 // lgkmcnt=-1 vmcnt=0wait for global read before writing to local
_ds_store_b128 v[vgprLocalWriteAddrA], v[vgprG2LA+4:vgprG2LA+4+3] offset:4096 // lwoA_0_0_1_0 = (0*LSCA) + (1*LSPA)(*MT0I+PAD) = 4096
v_mfma_f64_16x16x4f64 a[40+0:47+0], v[vgprValuB_X1_I0+2+0+0:vgprValuB_X1_I0+2+0+0+1], v[vgprValuA_X1_I0+2+0+0:vgprValuA_X1_I0+2+0+0+1], a[40:47]
/*  mfmaIndex:23  */
v_mfma_f64_16x16x4f64 a[32+0:39+0], v[vgprValuB_X1_I0+2+0+0:vgprValuB_X1_I0+2+0+0+1], v[vgprValuA_X1_I0+0+0+0:vgprValuA_X1_I0+0+0+0+1], a[32:39]
/*  mfmaIndex:24  */
	;; [unrolled: 2-line block ×5, first 2 shown]
/* sched write - iter 1 writesPerItem=1 */
s_waitcnt vmcnt(0)                                 // lgkmcnt=-1 vmcnt=0wait for global read before writing to local
_ds_store_b128 v[vgprLocalWriteAddrA], v[vgprG2LA+8:vgprG2LA+8+3] offset:8192 // lwoA_0_0_2_0 = (0*LSCA) + (2*LSPA)(*MT0I+PAD) = 8192
v_mfma_f64_16x16x4f64 a[88+0:95+0], v[vgprValuB_X1_I0+4+0+0:vgprValuB_X1_I0+4+0+0+1], v[vgprValuA_X1_I0+6+0+0:vgprValuA_X1_I0+6+0+0+1], a[88:95]
/*  mfmaIndex:28  */
v_mfma_f64_16x16x4f64 a[120+0:127+0], v[vgprValuB_X1_I0+6+0+0:vgprValuB_X1_I0+6+0+0+1], v[vgprValuA_X1_I0+6+0+0:vgprValuA_X1_I0+6+0+0+1], a[120:127]
/*  mfmaIndex:29  */
	;; [unrolled: 2-line block ×4, first 2 shown]
v_mfma_f64_16x16x4f64 a[96+0:103+0], v[vgprValuB_X1_I0+6+0+0:vgprValuB_X1_I0+6+0+0+1], v[vgprValuA_X1_I0+0+0+0:vgprValuA_X1_I0+0+0+0+1], a[96:103]
/* numPrefetchIter=0 */
/* dataAtIterA=0 numReadsIterA=2 skipReadsIterA=1 readsPerIterA=4 */
/* dataAtIterB=0 numReadsIterB=2 skipReadsIterB=1 readsPerIterB=4 */


/* iter 2 (reset local read pointers iteration)  (swap local read pointers iteration)  */

/*  grEndMfmaIndex:6, lwStartMfmaIndex:17, lwEndMfmaIndex:55  */
/*  numMfmaForLR:6, barrierMfmaIndex:57, LocalWritePerMfma:0.185 */
/*  mfmaIndex:32  */
v_mfma_f64_16x16x4f64 a[0+0:7+0], v[vgprValuB_X2_I0+0+0+0:vgprValuB_X2_I0+0+0+0+1], v[vgprValuA_X2_I0+0+0+0:vgprValuA_X2_I0+0+0+0+1], a[0:7]
/*  mfmaIndex:33  */
/* sched write - iter 2 writesPerItem=1 */
s_waitcnt vmcnt(0)                                 // lgkmcnt=-1 vmcnt=0wait for global read before writing to local
_ds_store_b128 v[vgprLocalWriteAddrA], v[vgprG2LA+12:vgprG2LA+12+3] offset:12288 // lwoA_0_0_3_0 = (0*LSCA) + (3*LSPA)(*MT0I+PAD) = 12288
v_mfma_f64_16x16x4f64 a[8+0:15+0], v[vgprValuB_X2_I0+0+0+0:vgprValuB_X2_I0+0+0+0+1], v[vgprValuA_X2_I0+2+0+0:vgprValuA_X2_I0+2+0+0+1], a[8:15]
/*  mfmaIndex:34  */
v_mfma_f64_16x16x4f64 a[16+0:23+0], v[vgprValuB_X2_I0+0+0+0:vgprValuB_X2_I0+0+0+0+1], v[vgprValuA_X2_I0+4+0+0:vgprValuA_X2_I0+4+0+0+1], a[16:23]
/*  mfmaIndex:35  */
	;; [unrolled: 2-line block ×5, first 2 shown]
/* sched write - iter 2 writesPerItem=2 */
s_waitcnt vmcnt(0)                                 // lgkmcnt=-1 vmcnt=0wait for global read before writing to local
_ds_store_b64 v[vgprLocalWriteAddrB], v[vgprG2LB+0:vgprG2LB+0+1] offset:0 // lwoB_0_0_0_0 = (0 + 0*LSCB)*(MT1J+PAD) + (0*LSPB) = 0
_ds_store_b64 v[vgprLocalWriteAddrB], v[vgprG2LB+2:vgprG2LB+2+1] offset:1024 // lwoB_0_1_0_0 = (1 + 0*LSCB)*(MT1J+PAD) + (0*LSPB) = 1024
v_mfma_f64_16x16x4f64 a[40+0:47+0], v[vgprValuB_X2_I0+2+0+0:vgprValuB_X2_I0+2+0+0+1], v[vgprValuA_X2_I0+2+0+0:vgprValuA_X2_I0+2+0+0+1], a[40:47]
/*  mfmaIndex:39  */
v_mfma_f64_16x16x4f64 a[32+0:39+0], v[vgprValuB_X2_I0+2+0+0:vgprValuB_X2_I0+2+0+0+1], v[vgprValuA_X2_I0+0+0+0:vgprValuA_X2_I0+0+0+0+1], a[32:39]
/*  mfmaIndex:40  */
v_mfma_f64_16x16x4f64 a[64+0:71+0], v[vgprValuB_X2_I0+4+0+0:vgprValuB_X2_I0+4+0+0+1], v[vgprValuA_X2_I0+0+0+0:vgprValuA_X2_I0+0+0+0+1], a[64:71]
/*  mfmaIndex:41  */
v_mfma_f64_16x16x4f64 a[72+0:79+0], v[vgprValuB_X2_I0+4+0+0:vgprValuB_X2_I0+4+0+0+1], v[vgprValuA_X2_I0+2+0+0:vgprValuA_X2_I0+2+0+0+1], a[72:79]
/*  mfmaIndex:42  */
v_mfma_f64_16x16x4f64 a[80+0:87+0], v[vgprValuB_X2_I0+4+0+0:vgprValuB_X2_I0+4+0+0+1], v[vgprValuA_X2_I0+4+0+0:vgprValuA_X2_I0+4+0+0+1], a[80:87]
/*  mfmaIndex:43  */
v_mfma_f64_16x16x4f64 a[88+0:95+0], v[vgprValuB_X2_I0+4+0+0:vgprValuB_X2_I0+4+0+0+1], v[vgprValuA_X2_I0+6+0+0:vgprValuA_X2_I0+6+0+0+1], a[88:95]
/*  mfmaIndex:44  */
/* sched write - iter 2 writesPerItem=2 */
s_waitcnt vmcnt(0)                                 // lgkmcnt=-1 vmcnt=0wait for global read before writing to local
_ds_store_b64 v[vgprLocalWriteAddrB], v[vgprG2LB+4:vgprG2LB+4+1] offset:256 // lwoB_0_0_1_0 = (0 + 0*LSCB)*(MT1J+PAD) + (1*LSPB) = 256
_ds_store_b64 v[vgprLocalWriteAddrB], v[vgprG2LB+6:vgprG2LB+6+1] offset:1280 // lwoB_0_1_1_0 = (1 + 0*LSCB)*(MT1J+PAD) + (1*LSPB) = 1280
v_mfma_f64_16x16x4f64 a[120+0:127+0], v[vgprValuB_X2_I0+6+0+0:vgprValuB_X2_I0+6+0+0+1], v[vgprValuA_X2_I0+6+0+0:vgprValuA_X2_I0+6+0+0+1], a[120:127]
/*  mfmaIndex:45  */
v_mfma_f64_16x16x4f64 a[112+0:119+0], v[vgprValuB_X2_I0+6+0+0:vgprValuB_X2_I0+6+0+0+1], v[vgprValuA_X2_I0+4+0+0:vgprValuA_X2_I0+4+0+0+1], a[112:119]
/*  mfmaIndex:46  */
	;; [unrolled: 2-line block ×3, first 2 shown]

/* local read swap offsets a */

/* local read swap offsets b */

/* local read init pointers a */

/* localReadInitPointers */

/* local read init pointers b */

/* localReadInitPointers */
v_mfma_f64_16x16x4f64 a[96+0:103+0], v[vgprValuB_X2_I0+6+0+0:vgprValuB_X2_I0+6+0+0+1], v[vgprValuA_X2_I0+0+0+0:vgprValuA_X2_I0+0+0+0+1], a[96:103]


/* iter 3 (swap and reset local write pointers iteration)  */

/*  grEndMfmaIndex:6, lwStartMfmaIndex:17, lwEndMfmaIndex:55  */
/*  numMfmaForLR:6, barrierMfmaIndex:57, LocalWritePerMfma:0.185 */
/*  mfmaIndex:48  */
v_mfma_f64_16x16x4f64 a[0+0:7+0], v[vgprValuB_X3_I0+0+0+0:vgprValuB_X3_I0+0+0+0+1], v[vgprValuA_X3_I0+0+0+0:vgprValuA_X3_I0+0+0+0+1], a[0:7]
/*  mfmaIndex:49  */
/* sched write - iter 3 writesPerItem=2 */
s_waitcnt vmcnt(0)                                 // lgkmcnt=-1 vmcnt=0wait for global read before writing to local
_ds_store_b64 v[vgprLocalWriteAddrB], v[vgprG2LB+8:vgprG2LB+8+1] offset:512 // lwoB_0_0_2_0 = (0 + 0*LSCB)*(MT1J+PAD) + (2*LSPB) = 512
_ds_store_b64 v[vgprLocalWriteAddrB], v[vgprG2LB+10:vgprG2LB+10+1] offset:1536 // lwoB_0_1_2_0 = (1 + 0*LSCB)*(MT1J+PAD) + (2*LSPB) = 1536
v_mfma_f64_16x16x4f64 a[8+0:15+0], v[vgprValuB_X3_I0+0+0+0:vgprValuB_X3_I0+0+0+0+1], v[vgprValuA_X3_I0+2+0+0:vgprValuA_X3_I0+2+0+0+1], a[8:15]
/*  mfmaIndex:50  */
v_mfma_f64_16x16x4f64 a[16+0:23+0], v[vgprValuB_X3_I0+0+0+0:vgprValuB_X3_I0+0+0+0+1], v[vgprValuA_X3_I0+4+0+0:vgprValuA_X3_I0+4+0+0+1], a[16:23]
/*  mfmaIndex:51  */
	;; [unrolled: 2-line block ×5, first 2 shown]
/* sched write - iter 3 writesPerItem=2 */
s_waitcnt vmcnt(0)                                 // lgkmcnt=-1 vmcnt=0wait for global read before writing to local
_ds_store_b64 v[vgprLocalWriteAddrB], v[vgprG2LB+12:vgprG2LB+12+1] offset:768 // lwoB_0_0_3_0 = (0 + 0*LSCB)*(MT1J+PAD) + (3*LSPB) = 768
_ds_store_b64 v[vgprLocalWriteAddrB], v[vgprG2LB+14:vgprG2LB+14+1] offset:1792 // lwoB_0_1_3_0 = (1 + 0*LSCB)*(MT1J+PAD) + (3*LSPB) = 1792
v_mfma_f64_16x16x4f64 a[40+0:47+0], v[vgprValuB_X3_I0+2+0+0:vgprValuB_X3_I0+2+0+0+1], v[vgprValuA_X3_I0+2+0+0:vgprValuA_X3_I0+2+0+0+1], a[40:47]
/*  mfmaIndex:55  */

/* local write swap offsets a */

/* local write swap offsets b */
v_mfma_f64_16x16x4f64 a[32+0:39+0], v[vgprValuB_X3_I0+2+0+0:vgprValuB_X3_I0+2+0+0+1], v[vgprValuA_X3_I0+0+0+0:vgprValuA_X3_I0+0+0+0+1], a[32:39]
/*  mfmaIndex:56  */
v_mfma_f64_16x16x4f64 a[64+0:71+0], v[vgprValuB_X3_I0+4+0+0:vgprValuB_X3_I0+4+0+0+1], v[vgprValuA_X3_I0+0+0+0:vgprValuA_X3_I0+0+0+0+1], a[64:71]
s_setprio 0                                        // store optimization
/*  mfmaIndex:57  */
s_waitcnt lgkmcnt(0)                               // lgkmcnt=0 vmcnt=-13wait for local write
// Skip force waitcnt0
s_barrier //
v_mfma_f64_16x16x4f64 a[72+0:79+0], v[vgprValuB_X3_I0+4+0+0:vgprValuB_X3_I0+4+0+0+1], v[vgprValuA_X3_I0+2+0+0:vgprValuA_X3_I0+2+0+0+1], a[72:79]
/*  mfmaIndex:58  */
s_setprio 3                                        // store optimization
_ds_load_b64 v[vgprValuA_X0_I0+0:vgprValuA_X0_I0+0+1], v[vgprLocalReadAddrA] offset:0 // L -> Reg lro=0 swapByteOffset=0 ti=64 vIdx=0 rIdx=0 oIdx=0 buffer=0 iui=0
_ds_load_b64 v[vgprValuB_X0_I0+0:vgprValuB_X0_I0+0+1], v[vgprLocalReadAddrB] offset:0 // L -> Reg lro=0 swapByteOffset=0 ti=32 vIdx=0 rIdx=0 oIdx=0 buffer=0 iui=0
v_mfma_f64_16x16x4f64 a[80+0:87+0], v[vgprValuB_X3_I0+4+0+0:vgprValuB_X3_I0+4+0+0+1], v[vgprValuA_X3_I0+4+0+0:vgprValuA_X3_I0+4+0+0+1], a[80:87]
/*  mfmaIndex:59  */
_ds_load_b64 v[vgprValuA_X0_I0+2:vgprValuA_X0_I0+2+1], v[vgprLocalReadAddrA] offset:8 // L -> Reg lro=0 swapByteOffset=0 ti=64 vIdx=0 rIdx=0 oIdx=0 buffer=0 iui=0
_ds_load_b64 v[vgprValuA_X0_I0+4:vgprValuA_X0_I0+4+1], v[vgprLocalReadAddrA] offset:512 // L -> Reg lro=0 swapByteOffset=0 ti=64 vIdx=1 rIdx=0 oIdx=0 buffer=0 iui=0
v_mfma_f64_16x16x4f64 a[88+0:95+0], v[vgprValuB_X3_I0+4+0+0:vgprValuB_X3_I0+4+0+0+1], v[vgprValuA_X3_I0+6+0+0:vgprValuA_X3_I0+6+0+0+1], a[88:95]
/*  mfmaIndex:60  */
_ds_load_b64 v[vgprValuA_X0_I0+6:vgprValuA_X0_I0+6+1], v[vgprLocalReadAddrA] offset:520 // L -> Reg lro=0 swapByteOffset=0 ti=64 vIdx=1 rIdx=0 oIdx=0 buffer=0 iui=0
_ds_load_b64 v[vgprValuB_X0_I0+2:vgprValuB_X0_I0+2+1], v[vgprLocalReadAddrB] offset:256 // L -> Reg lro=0 swapByteOffset=0 ti=32 vIdx=1 rIdx=0 oIdx=0 buffer=0 iui=0
v_mfma_f64_16x16x4f64 a[120+0:127+0], v[vgprValuB_X3_I0+6+0+0:vgprValuB_X3_I0+6+0+0+1], v[vgprValuA_X3_I0+6+0+0:vgprValuA_X3_I0+6+0+0+1], a[120:127]
/*  mfmaIndex:61  */
_ds_load_b64 v[vgprValuB_X0_I0+4:vgprValuB_X0_I0+4+1], v[vgprLocalReadAddrB] offset:512 // L -> Reg lro=0 swapByteOffset=0 ti=32 vIdx=2 rIdx=0 oIdx=0 buffer=0 iui=0
_ds_load_b64 v[vgprValuB_X0_I0+6:vgprValuB_X0_I0+6+1], v[vgprLocalReadAddrB] offset:768 // L -> Reg lro=0 swapByteOffset=0 ti=32 vIdx=3 rIdx=0 oIdx=0 buffer=0 iui=0
v_mfma_f64_16x16x4f64 a[112+0:119+0], v[vgprValuB_X3_I0+6+0+0:vgprValuB_X3_I0+6+0+0+1], v[vgprValuA_X3_I0+4+0+0:vgprValuA_X3_I0+4+0+0+1], a[112:119]
/*  mfmaIndex:62  */
v_mfma_f64_16x16x4f64 a[104+0:111+0], v[vgprValuB_X3_I0+6+0+0:vgprValuB_X3_I0+6+0+0+1], v[vgprValuA_X3_I0+2+0+0:vgprValuA_X3_I0+2+0+0+1], a[104:111]
/*  mfmaIndex:63  */
v_mfma_f64_16x16x4f64 a[96+0:103+0], v[vgprValuB_X3_I0+6+0+0:vgprValuB_X3_I0+6+0+0+1], v[vgprValuA_X3_I0+0+0+0:vgprValuA_X3_I0+0+0+0+1], a[96:103]
s_setprio 0                                        // store optimization

label_0016:


/******************************************/
/* Ord. NoLoadLoop - Begin                                      */
/******************************************/


	;; [unrolled: 1-line block ×4, first 2 shown]
/* iter 0 (last unrolled loop) */

/*  grEndMfmaIndex:0, lwStartMfmaIndex:55, lwEndMfmaIndex:55  */
/*  numMfmaForLR:6, barrierMfmaIndex:57, LocalWritePerMfma:0.185 */
/*  mfmaIndex:0  */
s_waitcnt lgkmcnt(0)                               // lgkmcnt=0 vmcnt=-1wait for prior local read local write old=0, new=0 newLW=0 newLR=0
v_mfma_f64_16x16x4f64 a[0+0:7+0], v[vgprValuB_X0_I0+0+0+0:vgprValuB_X0_I0+0+0+0+1], v[vgprValuA_X0_I0+0+0+0:vgprValuA_X0_I0+0+0+0+1], a[0:7]
/*  mfmaIndex:1  */
_ds_load_b64 v[vgprValuA_X1_I0+0:vgprValuA_X1_I0+0+1], v[vgprLocalReadAddrA] offset:4096 // L -> Reg lro=512 swapByteOffset=0 ti=64 vIdx=0 rIdx=0 oIdx=0 buffer=1 iui=0
_ds_load_b64 v[vgprValuB_X1_I0+0:vgprValuB_X1_I0+0+1], v[vgprLocalReadAddrB] offset:4096 // L -> Reg lro=512 swapByteOffset=0 ti=32 vIdx=0 rIdx=0 oIdx=0 buffer=1 iui=0
v_mfma_f64_16x16x4f64 a[8+0:15+0], v[vgprValuB_X0_I0+0+0+0:vgprValuB_X0_I0+0+0+0+1], v[vgprValuA_X0_I0+2+0+0:vgprValuA_X0_I0+2+0+0+1], a[8:15]
/*  mfmaIndex:2  */
_ds_load_b64 v[vgprValuA_X1_I0+2:vgprValuA_X1_I0+2+1], v[vgprLocalReadAddrA] offset:4104 // L -> Reg lro=512 swapByteOffset=0 ti=64 vIdx=0 rIdx=0 oIdx=0 buffer=1 iui=0
_ds_load_b64 v[vgprValuA_X1_I0+4:vgprValuA_X1_I0+4+1], v[vgprLocalReadAddrA] offset:4608 // L -> Reg lro=512 swapByteOffset=0 ti=64 vIdx=1 rIdx=0 oIdx=0 buffer=1 iui=0
v_mfma_f64_16x16x4f64 a[16+0:23+0], v[vgprValuB_X0_I0+0+0+0:vgprValuB_X0_I0+0+0+0+1], v[vgprValuA_X0_I0+4+0+0:vgprValuA_X0_I0+4+0+0+1], a[16:23]
/*  mfmaIndex:3  */
_ds_load_b64 v[vgprValuA_X1_I0+6:vgprValuA_X1_I0+6+1], v[vgprLocalReadAddrA] offset:4616 // L -> Reg lro=512 swapByteOffset=0 ti=64 vIdx=1 rIdx=0 oIdx=0 buffer=1 iui=0
_ds_load_b64 v[vgprValuB_X1_I0+2:vgprValuB_X1_I0+2+1], v[vgprLocalReadAddrB] offset:4352 // L -> Reg lro=512 swapByteOffset=0 ti=32 vIdx=1 rIdx=0 oIdx=0 buffer=1 iui=0
v_mfma_f64_16x16x4f64 a[24+0:31+0], v[vgprValuB_X0_I0+0+0+0:vgprValuB_X0_I0+0+0+0+1], v[vgprValuA_X0_I0+6+0+0:vgprValuA_X0_I0+6+0+0+1], a[24:31]
/*  mfmaIndex:4  */
_ds_load_b64 v[vgprValuB_X1_I0+4:vgprValuB_X1_I0+4+1], v[vgprLocalReadAddrB] offset:4608 // L -> Reg lro=512 swapByteOffset=0 ti=32 vIdx=2 rIdx=0 oIdx=0 buffer=1 iui=0
_ds_load_b64 v[vgprValuB_X1_I0+6:vgprValuB_X1_I0+6+1], v[vgprLocalReadAddrB] offset:4864 // L -> Reg lro=512 swapByteOffset=0 ti=32 vIdx=3 rIdx=0 oIdx=0 buffer=1 iui=0
/* localReadsVacancy: latencyLeft 1 */
v_mfma_f64_16x16x4f64 a[56+0:63+0], v[vgprValuB_X0_I0+2+0+0:vgprValuB_X0_I0+2+0+0+1], v[vgprValuA_X0_I0+6+0+0:vgprValuA_X0_I0+6+0+0+1], a[56:63]
/*  mfmaIndex:5  */
/* localReadsVacancy: latencyLeft 5 */
_ds_load_b64 v[vgprValuA_X2_I0+0:vgprValuA_X2_I0+0+1], v[vgprLocalReadAddrA] offset:8192 // L -> Reg lro=1024 swapByteOffset=0 ti=64 vIdx=0 rIdx=0 oIdx=0 buffer=2 iui=0
_ds_load_b64 v[vgprValuB_X2_I0+0:vgprValuB_X2_I0+0+1], v[vgprLocalReadAddrB] offset:8192 // L -> Reg lro=1024 swapByteOffset=0 ti=32 vIdx=0 rIdx=0 oIdx=0 buffer=2 iui=0
v_mfma_f64_16x16x4f64 a[48+0:55+0], v[vgprValuB_X0_I0+2+0+0:vgprValuB_X0_I0+2+0+0+1], v[vgprValuA_X0_I0+4+0+0:vgprValuA_X0_I0+4+0+0+1], a[48:55]
/*  mfmaIndex:6  */
/* localReadsVacancy: latencyLeft 5 */
_ds_load_b64 v[vgprValuA_X2_I0+2:vgprValuA_X2_I0+2+1], v[vgprLocalReadAddrA] offset:8200 // L -> Reg lro=1024 swapByteOffset=0 ti=64 vIdx=0 rIdx=0 oIdx=0 buffer=2 iui=0
_ds_load_b64 v[vgprValuA_X2_I0+4:vgprValuA_X2_I0+4+1], v[vgprLocalReadAddrA] offset:8704 // L -> Reg lro=1024 swapByteOffset=0 ti=64 vIdx=1 rIdx=0 oIdx=0 buffer=2 iui=0
v_mfma_f64_16x16x4f64 a[40+0:47+0], v[vgprValuB_X0_I0+2+0+0:vgprValuB_X0_I0+2+0+0+1], v[vgprValuA_X0_I0+2+0+0:vgprValuA_X0_I0+2+0+0+1], a[40:47]
/*  mfmaIndex:7  */
/* localReadsVacancy: latencyLeft 5 */
_ds_load_b64 v[vgprValuA_X2_I0+6:vgprValuA_X2_I0+6+1], v[vgprLocalReadAddrA] offset:8712 // L -> Reg lro=1024 swapByteOffset=0 ti=64 vIdx=1 rIdx=0 oIdx=0 buffer=2 iui=0
_ds_load_b64 v[vgprValuB_X2_I0+2:vgprValuB_X2_I0+2+1], v[vgprLocalReadAddrB] offset:8448 // L -> Reg lro=1024 swapByteOffset=0 ti=32 vIdx=1 rIdx=0 oIdx=0 buffer=2 iui=0
v_mfma_f64_16x16x4f64 a[32+0:39+0], v[vgprValuB_X0_I0+2+0+0:vgprValuB_X0_I0+2+0+0+1], v[vgprValuA_X0_I0+0+0+0:vgprValuA_X0_I0+0+0+0+1], a[32:39]
/*  mfmaIndex:8  */
/* localReadsVacancy: latencyLeft 5 */
_ds_load_b64 v[vgprValuB_X2_I0+4:vgprValuB_X2_I0+4+1], v[vgprLocalReadAddrB] offset:8704 // L -> Reg lro=1024 swapByteOffset=0 ti=32 vIdx=2 rIdx=0 oIdx=0 buffer=2 iui=0
_ds_load_b64 v[vgprValuB_X2_I0+6:vgprValuB_X2_I0+6+1], v[vgprLocalReadAddrB] offset:8960 // L -> Reg lro=1024 swapByteOffset=0 ti=32 vIdx=3 rIdx=0 oIdx=0 buffer=2 iui=0
v_mfma_f64_16x16x4f64 a[64+0:71+0], v[vgprValuB_X0_I0+4+0+0:vgprValuB_X0_I0+4+0+0+1], v[vgprValuA_X0_I0+0+0+0:vgprValuA_X0_I0+0+0+0+1], a[64:71]
/*  mfmaIndex:9  */
/* localReadsVacancy: latencyLeft 5 */
_ds_load_b64 v[vgprValuA_X3_I0+0:vgprValuA_X3_I0+0+1], v[vgprLocalReadAddrA] offset:12288 // L -> Reg lro=1536 swapByteOffset=0 ti=64 vIdx=0 rIdx=0 oIdx=0 buffer=3 iui=0
_ds_load_b64 v[vgprValuB_X3_I0+0:vgprValuB_X3_I0+0+1], v[vgprLocalReadAddrB] offset:12288 // L -> Reg lro=1536 swapByteOffset=0 ti=32 vIdx=0 rIdx=0 oIdx=0 buffer=3 iui=0
v_mfma_f64_16x16x4f64 a[72+0:79+0], v[vgprValuB_X0_I0+4+0+0:vgprValuB_X0_I0+4+0+0+1], v[vgprValuA_X0_I0+2+0+0:vgprValuA_X0_I0+2+0+0+1], a[72:79]
/*  mfmaIndex:10  */
/* localReadsVacancy: latencyLeft 5 */
_ds_load_b64 v[vgprValuA_X3_I0+2:vgprValuA_X3_I0+2+1], v[vgprLocalReadAddrA] offset:12296 // L -> Reg lro=1536 swapByteOffset=0 ti=64 vIdx=0 rIdx=0 oIdx=0 buffer=3 iui=0
_ds_load_b64 v[vgprValuA_X3_I0+4:vgprValuA_X3_I0+4+1], v[vgprLocalReadAddrA] offset:12800 // L -> Reg lro=1536 swapByteOffset=0 ti=64 vIdx=1 rIdx=0 oIdx=0 buffer=3 iui=0
v_mfma_f64_16x16x4f64 a[80+0:87+0], v[vgprValuB_X0_I0+4+0+0:vgprValuB_X0_I0+4+0+0+1], v[vgprValuA_X0_I0+4+0+0:vgprValuA_X0_I0+4+0+0+1], a[80:87]
/*  mfmaIndex:11  */
/* localReadsVacancy: latencyLeft 5 */
_ds_load_b64 v[vgprValuA_X3_I0+6:vgprValuA_X3_I0+6+1], v[vgprLocalReadAddrA] offset:12808 // L -> Reg lro=1536 swapByteOffset=0 ti=64 vIdx=1 rIdx=0 oIdx=0 buffer=3 iui=0
_ds_load_b64 v[vgprValuB_X3_I0+2:vgprValuB_X3_I0+2+1], v[vgprLocalReadAddrB] offset:12544 // L -> Reg lro=1536 swapByteOffset=0 ti=32 vIdx=1 rIdx=0 oIdx=0 buffer=3 iui=0
v_mfma_f64_16x16x4f64 a[88+0:95+0], v[vgprValuB_X0_I0+4+0+0:vgprValuB_X0_I0+4+0+0+1], v[vgprValuA_X0_I0+6+0+0:vgprValuA_X0_I0+6+0+0+1], a[88:95]
/*  mfmaIndex:12  */
/* localReadsVacancy: latencyLeft 5 */
_ds_load_b64 v[vgprValuB_X3_I0+4:vgprValuB_X3_I0+4+1], v[vgprLocalReadAddrB] offset:12800 // L -> Reg lro=1536 swapByteOffset=0 ti=32 vIdx=2 rIdx=0 oIdx=0 buffer=3 iui=0
_ds_load_b64 v[vgprValuB_X3_I0+6:vgprValuB_X3_I0+6+1], v[vgprLocalReadAddrB] offset:13056 // L -> Reg lro=1536 swapByteOffset=0 ti=32 vIdx=3 rIdx=0 oIdx=0 buffer=3 iui=0
v_mfma_f64_16x16x4f64 a[120+0:127+0], v[vgprValuB_X0_I0+6+0+0:vgprValuB_X0_I0+6+0+0+1], v[vgprValuA_X0_I0+6+0+0:vgprValuA_X0_I0+6+0+0+1], a[120:127]
/*  mfmaIndex:13  */
/* localReadsVacancy: latencyLeft 5 */
v_mfma_f64_16x16x4f64 a[112+0:119+0], v[vgprValuB_X0_I0+6+0+0:vgprValuB_X0_I0+6+0+0+1], v[vgprValuA_X0_I0+4+0+0:vgprValuA_X0_I0+4+0+0+1], a[112:119]
/*  mfmaIndex:14  */
/* localReadsVacancy: latencyLeft 5 */
v_mfma_f64_16x16x4f64 a[104+0:111+0], v[vgprValuB_X0_I0+6+0+0:vgprValuB_X0_I0+6+0+0+1], v[vgprValuA_X0_I0+2+0+0:vgprValuA_X0_I0+2+0+0+1], a[104:111]
/*  mfmaIndex:15  */
/* localReadsVacancy: latencyLeft 5 */
v_mfma_f64_16x16x4f64 a[96+0:103+0], v[vgprValuB_X0_I0+6+0+0:vgprValuB_X0_I0+6+0+0+1], v[vgprValuA_X0_I0+0+0+0:vgprValuA_X0_I0+0+0+0+1], a[96:103]
/* numPrefetchIter=0 */
/* dataAtIterA=-1 numReadsIterA=1 skipReadsIterA=1 readsPerIterA=4 */
/* dataAtIterB=-1 numReadsIterB=1 skipReadsIterB=1 readsPerIterB=4 */


/* iter 1 (last unrolled loop) */

/*  grEndMfmaIndex:0, lwStartMfmaIndex:55, lwEndMfmaIndex:55  */
/*  numMfmaForLR:6, barrierMfmaIndex:57, LocalWritePerMfma:0.185 */
/*  mfmaIndex:16  */
/* localReadsVacancy: latencyLeft 5 */
s_waitcnt lgkmcnt(15)                              // lgkmcnt=0 vmcnt=-1wait for prior local read local write old=8, new=8 newLW=0 newLR=0
v_mfma_f64_16x16x4f64 a[0+0:7+0], v[vgprValuB_X1_I0+0+0+0:vgprValuB_X1_I0+0+0+0+1], v[vgprValuA_X1_I0+0+0+0:vgprValuA_X1_I0+0+0+0+1], a[0:7]
/*  mfmaIndex:17  */
/* localReadsVacancy: latencyLeft 5 */
v_mfma_f64_16x16x4f64 a[8+0:15+0], v[vgprValuB_X1_I0+0+0+0:vgprValuB_X1_I0+0+0+0+1], v[vgprValuA_X1_I0+2+0+0:vgprValuA_X1_I0+2+0+0+1], a[8:15]
/*  mfmaIndex:18  */
/* localReadsVacancy: latencyLeft 5 */
	;; [unrolled: 3-line block ×15, first 2 shown]
v_mfma_f64_16x16x4f64 a[96+0:103+0], v[vgprValuB_X1_I0+6+0+0:vgprValuB_X1_I0+6+0+0+1], v[vgprValuA_X1_I0+0+0+0:vgprValuA_X1_I0+0+0+0+1], a[96:103]
/* numPrefetchIter=0 */
/* dataAtIterA=0 numReadsIterA=2 skipReadsIterA=1 readsPerIterA=4 */
/* dataAtIterB=0 numReadsIterB=2 skipReadsIterB=1 readsPerIterB=4 */


/* iter 2 (last unrolled loop) */

/*  grEndMfmaIndex:0, lwStartMfmaIndex:55, lwEndMfmaIndex:55  */
/*  numMfmaForLR:6, barrierMfmaIndex:57, LocalWritePerMfma:0.185 */
/*  mfmaIndex:32  */
/* localReadsVacancy: latencyLeft 5 */
s_waitcnt lgkmcnt(0)                               // lgkmcnt=0 vmcnt=-1wait for prior local read local write old=0, new=0 newLW=0 newLR=0
v_mfma_f64_16x16x4f64 a[0+0:7+0], v[vgprValuB_X2_I0+0+0+0:vgprValuB_X2_I0+0+0+0+1], v[vgprValuA_X2_I0+0+0+0:vgprValuA_X2_I0+0+0+0+1], a[0:7]
/*  mfmaIndex:33  */
/* localReadsVacancy: latencyLeft 5 */
v_mfma_f64_16x16x4f64 a[8+0:15+0], v[vgprValuB_X2_I0+0+0+0:vgprValuB_X2_I0+0+0+0+1], v[vgprValuA_X2_I0+2+0+0:vgprValuA_X2_I0+2+0+0+1], a[8:15]
/*  mfmaIndex:34  */
/* localReadsVacancy: latencyLeft 5 */
	;; [unrolled: 3-line block ×15, first 2 shown]
v_mfma_f64_16x16x4f64 a[96+0:103+0], v[vgprValuB_X2_I0+6+0+0:vgprValuB_X2_I0+6+0+0+1], v[vgprValuA_X2_I0+0+0+0:vgprValuA_X2_I0+0+0+0+1], a[96:103]
/* numPrefetchIter=0 */
/* dataAtIterA=1 numReadsIterA=3 skipReadsIterA=1 readsPerIterA=4 */
/* dataAtIterB=1 numReadsIterB=3 skipReadsIterB=1 readsPerIterB=4 */


/* iter 3 (last unrolled loop) */

/*  grEndMfmaIndex:0, lwStartMfmaIndex:55, lwEndMfmaIndex:55  */
/*  numMfmaForLR:6, barrierMfmaIndex:57, LocalWritePerMfma:0.185 */
/*  mfmaIndex:48  */
s_waitcnt lgkmcnt(0)                               // lgkmcnt=0 vmcnt=-1wait for prior local read local write old=0, new=0 newLW=0 newLR=0
v_mfma_f64_16x16x4f64 a[0+0:7+0], v[vgprValuB_X3_I0+0+0+0:vgprValuB_X3_I0+0+0+0+1], v[vgprValuA_X3_I0+0+0+0:vgprValuA_X3_I0+0+0+0+1], a[0:7]
/*  mfmaIndex:49  */
v_mfma_f64_16x16x4f64 a[8+0:15+0], v[vgprValuB_X3_I0+0+0+0:vgprValuB_X3_I0+0+0+0+1], v[vgprValuA_X3_I0+2+0+0:vgprValuA_X3_I0+2+0+0+1], a[8:15]
/*  mfmaIndex:50  */
	;; [unrolled: 2-line block ×6, first 2 shown]
/* 1 LDS buffer: read-sync-write */
s_waitcnt lgkmcnt(0)                               // 
s_barrier                                          // 
v_mfma_f64_16x16x4f64 a[40+0:47+0], v[vgprValuB_X3_I0+2+0+0:vgprValuB_X3_I0+2+0+0+1], v[vgprValuA_X3_I0+2+0+0:vgprValuA_X3_I0+2+0+0+1], a[40:47]
/*  mfmaIndex:55  */
s_setprio 3                                        // store optimization
v_mfma_f64_16x16x4f64 a[32+0:39+0], v[vgprValuB_X3_I0+2+0+0:vgprValuB_X3_I0+2+0+0+1], v[vgprValuA_X3_I0+0+0+0:vgprValuA_X3_I0+0+0+0+1], a[32:39]
/*  mfmaIndex:56  */
v_mfma_f64_16x16x4f64 a[64+0:71+0], v[vgprValuB_X3_I0+4+0+0:vgprValuB_X3_I0+4+0+0+1], v[vgprValuA_X3_I0+0+0+0:vgprValuA_X3_I0+0+0+0+1], a[64:71]
s_setprio 0                                        // store optimization
/*  mfmaIndex:57  */
v_mfma_f64_16x16x4f64 a[72+0:79+0], v[vgprValuB_X3_I0+4+0+0:vgprValuB_X3_I0+4+0+0+1], v[vgprValuA_X3_I0+2+0+0:vgprValuA_X3_I0+2+0+0+1], a[72:79]
/*  mfmaIndex:58  */
s_setprio 3                                        // store optimization
v_mfma_f64_16x16x4f64 a[80+0:87+0], v[vgprValuB_X3_I0+4+0+0:vgprValuB_X3_I0+4+0+0+1], v[vgprValuA_X3_I0+4+0+0:vgprValuA_X3_I0+4+0+0+1], a[80:87]
/*  mfmaIndex:59  */
v_mfma_f64_16x16x4f64 a[88+0:95+0], v[vgprValuB_X3_I0+4+0+0:vgprValuB_X3_I0+4+0+0+1], v[vgprValuA_X3_I0+6+0+0:vgprValuA_X3_I0+6+0+0+1], a[88:95]
/*  mfmaIndex:60  */
	;; [unrolled: 2-line block ×5, first 2 shown]
v_mfma_f64_16x16x4f64 a[96+0:103+0], v[vgprValuB_X3_I0+6+0+0:vgprValuB_X3_I0+6+0+0+1], v[vgprValuA_X3_I0+0+0+0:vgprValuA_X3_I0+0+0+0+1], a[96:103]
/* numPrefetchIter=0 */
/* dataAtIterA=2 numReadsIterA=3 skipReadsIterA=0 readsPerIterA=4 */
/* dataAtIterB=2 numReadsIterB=3 skipReadsIterB=0 readsPerIterB=4 */

PrefetchGlobalLastIterEnd_5:


/******************************************/
/* Tail Loop                              */
/******************************************/


/* local write reset offsets a */


	;; [unrolled: 1-line block ×3, first 2 shown]
/* local write reset offsets b */


	;; [unrolled: 1-line block ×3, first 2 shown]
//numIterL = (((sizeL % LOCAL_DEPTHU) + LOCAL_SPLITU - 1) / LOCAL_SPLITU)
s_and_b32 s[sgprLoopCounterL], 15, s[sgprSizesSum+0] // s[sgprLoopCounterL] = s[sgprSizesSum+0] % 16
s_cmp_lg_u32 s[sgprGSUSumIdx], s[sgprGSUSumIdx+1]  // gsuSumIdx == numIterPerWgRemainder
s_cmov_b32 s[sgprLoopCounterL], 0x0                // numIter=0 if gsuSumIdx!=remainder
s_cmp_eq_u32 s[sgprLoopCounterL], 0x0              // numIterL == 0
s_cbranch_scc1 SkipTailLoopL_8                     // skip to end of tail loop b/c numIter==0
s_mov_b32 s[sgprOrigLoopCounter], 0                // repurpose to count each localRead increment


/* remove stagger offsets for tail loop */

s_mov_b32 s44, 3                                   // 
s_mul_hi_u32 s43, s44, s[sgprGlobalReadIncsA+0]    // 3 * GlobalReadIncs
s_mul_i32 s42, s44, s[sgprGlobalReadIncsA+0]       // 3 * GlobalReadIncs
s_mul_hi_u32 s45, s[sgprStaggerUIter], s[sgprGlobalReadIncsA+0] // StaggerUIter * GlobalReadIncs
s_mul_i32 s44, s[sgprStaggerUIter], s[sgprGlobalReadIncsA+0] // StaggerUIter * GlobalReadIncs
s_sub_u32 s42, s42, s44                            // start offset S in bytes
s_subb_u32 s43, s43, s45                           // start offset S in bytes
s_sub_u32 s42, s42, s[sgprWrapUA]                  // S - WrapU
s_subb_u32 s43, s43, s[sgprWrapUA+1]               // S - WrapU
s_add_u32 s[sgprSrdA+0], s[sgprSrdA+0], s42        // gra SRD += inc(lower)
s_addc_u32  s[sgprSrdA+1], s[sgprSrdA+1], s43      // gra SRD += inc(upper)
s_sub_u32 s[sgprShadowLimitA+0], s[sgprShadowLimitA+0], s42 // limit -= inc)
s_subb_u32 s[sgprShadowLimitA+1], s[sgprShadowLimitA+1], s43 // limit -= inc)
s_cmp_eq_u32 s[sgprShadowLimitA+1], 0              // are we within 2^32?
s_cselect_b32 s[sgprSrdA+2], s[sgprShadowLimitA+0], BufferLimitA // Move shadow to real if we are within 2^32

s_mov_b32 s44, 3                                   // 
s_mul_hi_u32 s43, s44, s[sgprGlobalReadIncsB+0]    // 3 * GlobalReadIncs
s_mul_i32 s42, s44, s[sgprGlobalReadIncsB+0]       // 3 * GlobalReadIncs
s_mul_hi_u32 s45, s[sgprStaggerUIter], s[sgprGlobalReadIncsB+0] // StaggerUIter * GlobalReadIncs
s_mul_i32 s44, s[sgprStaggerUIter], s[sgprGlobalReadIncsB+0] // StaggerUIter * GlobalReadIncs
s_sub_u32 s42, s42, s44                            // start offset S in bytes
s_subb_u32 s43, s43, s45                           // start offset S in bytes
s_sub_u32 s42, s42, s[sgprWrapUB]                  // S - WrapU
s_subb_u32 s43, s43, s[sgprWrapUB+1]               // S - WrapU
s_add_u32 s[sgprSrdB+0], s[sgprSrdB+0], s42        // gra SRD += inc(lower)
s_addc_u32  s[sgprSrdB+1], s[sgprSrdB+1], s43      // gra SRD += inc(upper)
s_sub_u32 s[sgprShadowLimitB+0], s[sgprShadowLimitB+0], s42 // limit -= inc)
s_subb_u32 s[sgprShadowLimitB+1], s[sgprShadowLimitB+1], s43 // limit -= inc)
s_cmp_eq_u32 s[sgprShadowLimitB+1], 0              // are we within 2^32?
s_cselect_b32 s[sgprSrdB+2], s[sgprShadowLimitB+0], BufferLimitB // Move shadow to real if we are within 2^32


/* Update M0 for DTLDS */


	;; [unrolled: 1-line block ×3, first 2 shown]
/* global read a */

/* g2l=0, load component 0 */
_buffer_load_b64 v[vgprG2LA+0+0:vgprG2LA+0+0+1], v[vgprGlobalReadOffsetA+0], s[sgprSrdA:sgprSrdA+3], 0, offen offset:0 // load one buffer value
/* g2l=0, load component 1 */
_buffer_load_b64 v[vgprG2LA+0+2:vgprG2LA+0+2+1], v[vgprGlobalReadOffsetA+0], s[sgprSrdA:sgprSrdA+3], 0, offen offset:8 // load one buffer value
	;; [unrolled: 2-line block ×8, first 2 shown]


/* Update M0 for DTLDS */


	;; [unrolled: 1-line block ×3, first 2 shown]
/* global read b */

/* g2l=0, load component 0 */
_buffer_load_b64 v[vgprG2LB+0+0:vgprG2LB+0+0+1], v[vgprGlobalReadOffsetB+0], s[sgprSrdB:sgprSrdB+3], 0, offen offset:0 // load one buffer value
/* g2l=0, load component 1 */
_buffer_load_b64 v[vgprG2LB+0+2:vgprG2LB+0+2+1], v[vgprGlobalReadOffsetB+0], s[sgprSrdB:sgprSrdB+3], 0, offen offset:8 // load one buffer value
	;; [unrolled: 2-line block ×8, first 2 shown]

s_waitcnt vmcnt(0)                                 // lgkmcnt=-1 vmcnt=02wait for global read

// Skip force waitcnt0
s_barrier //


/* Done global A/B reads */


	;; [unrolled: 1-line block ×4, first 2 shown]
/* local write a */

_ds_store_b128 v[vgprLocalWriteAddrA], v[vgprG2LA+0:vgprG2LA+0+3] offset:0 // lwoA_0_0_0_0 = (0*LSCA) + (0*LSPA)(*MT0I+PAD) = 0
_ds_store_b128 v[vgprLocalWriteAddrA], v[vgprG2LA+4:vgprG2LA+4+3] offset:4096 // lwoA_0_0_1_0 = (0*LSCA) + (1*LSPA)(*MT0I+PAD) = 4096
_ds_store_b128 v[vgprLocalWriteAddrA], v[vgprG2LA+8:vgprG2LA+8+3] offset:8192 // lwoA_0_0_2_0 = (0*LSCA) + (2*LSPA)(*MT0I+PAD) = 8192
_ds_store_b128 v[vgprLocalWriteAddrA], v[vgprG2LA+12:vgprG2LA+12+3] offset:12288 // lwoA_0_0_3_0 = (0*LSCA) + (3*LSPA)(*MT0I+PAD) = 12288


/* local write b */

_ds_store_b64 v[vgprLocalWriteAddrB], v[vgprG2LB+0:vgprG2LB+0+1] offset:0 // lwoB_0_0_0_0 = (0 + 0*LSCB)*(MT1J+PAD) + (0*LSPB) = 0
_ds_store_b64 v[vgprLocalWriteAddrB], v[vgprG2LB+2:vgprG2LB+2+1] offset:1024 // lwoB_0_1_0_0 = (1 + 0*LSCB)*(MT1J+PAD) + (0*LSPB) = 1024
_ds_store_b64 v[vgprLocalWriteAddrB], v[vgprG2LB+4:vgprG2LB+4+1] offset:256 // lwoB_0_0_1_0 = (0 + 0*LSCB)*(MT1J+PAD) + (1*LSPB) = 256
_ds_store_b64 v[vgprLocalWriteAddrB], v[vgprG2LB+6:vgprG2LB+6+1] offset:1280 // lwoB_0_1_1_0 = (1 + 0*LSCB)*(MT1J+PAD) + (1*LSPB) = 1280
_ds_store_b64 v[vgprLocalWriteAddrB], v[vgprG2LB+8:vgprG2LB+8+1] offset:512 // lwoB_0_0_2_0 = (0 + 0*LSCB)*(MT1J+PAD) + (2*LSPB) = 512
_ds_store_b64 v[vgprLocalWriteAddrB], v[vgprG2LB+10:vgprG2LB+10+1] offset:1536 // lwoB_0_1_2_0 = (1 + 0*LSCB)*(MT1J+PAD) + (2*LSPB) = 1536
_ds_store_b64 v[vgprLocalWriteAddrB], v[vgprG2LB+12:vgprG2LB+12+1] offset:768 // lwoB_0_0_3_0 = (0 + 0*LSCB)*(MT1J+PAD) + (3*LSPB) = 768
_ds_store_b64 v[vgprLocalWriteAddrB], v[vgprG2LB+14:vgprG2LB+14+1] offset:1792 // lwoB_0_1_3_0 = (1 + 0*LSCB)*(MT1J+PAD) + (3*LSPB) = 1792


/* Recalc local read offsets */


s_waitcnt lgkmcnt(0)                               // lgkmcnt=0 vmcnt=-15wait for local write

// Skip force waitcnt0
s_barrier //


/* local read reset offsets a */


	;; [unrolled: 1-line block ×3, first 2 shown]
/* local read reset offsets b */


	;; [unrolled: 1-line block ×3, first 2 shown]
/* local read init pointers a */


/* localReadInitPointers */


/* local read init pointers b */


/* localReadInitPointers */


/* tail loop: macs */

TailLoopBeginL_6:


/* local read a */

_ds_load_b64 v[vgprValuA_X0_I0+0:vgprValuA_X0_I0+0+1], v[vgprLocalReadAddrA] offset:0 // L -> Reg lro=0 swapByteOffset=0 ti=64 vIdx=0 rIdx=0 oIdx=0 buffer=0 iui=0
_ds_load_b64 v[vgprValuA_X0_I0+2:vgprValuA_X0_I0+2+1], v[vgprLocalReadAddrA] offset:8 // L -> Reg lro=0 swapByteOffset=0 ti=64 vIdx=0 rIdx=0 oIdx=0 buffer=0 iui=0
	;; [unrolled: 1-line block ×4, first 2 shown]


/* local read b */

_ds_load_b64 v[vgprValuB_X0_I0+0:vgprValuB_X0_I0+0+1], v[vgprLocalReadAddrB] offset:0 // L -> Reg lro=0 swapByteOffset=0 ti=32 vIdx=0 rIdx=0 oIdx=0 buffer=0 iui=0
_ds_load_b64 v[vgprValuB_X0_I0+2:vgprValuB_X0_I0+2+1], v[vgprLocalReadAddrB] offset:256 // L -> Reg lro=0 swapByteOffset=0 ti=32 vIdx=1 rIdx=0 oIdx=0 buffer=0 iui=0
	;; [unrolled: 1-line block ×4, first 2 shown]


/* local read inc a */

s_mov_b32 s10, 0x1000                              // inc
_v_add_co_u32 v[vgprLocalReadAddrA], vcc, s10, v[vgprLocalReadAddrA] // lrA += 4096 (LSU*(MT+PAD)*bpe)


/* local read inc b */

s_mov_b32 s10, 0x1000                              // inc
_v_add_co_u32 v[vgprLocalReadAddrB], vcc, s10, v[vgprLocalReadAddrB] // lrB += 4096 (LSU*(MT+PAD)*bpe)

s_waitcnt lgkmcnt(0)                               // lgkmcnt=0 vmcnt=-14wait for local read


	;; [unrolled: 1-line block ×3, first 2 shown]
/* tail loop mfma iter 0: numReadsIterCoalescedA=1, numReadsIterCoalescedB=1 */
v_and_b32 v109, 63, v[vgprSerial]                  // v109 = v[vgprSerial] % 64
v_lshrrev_b32 v109, 4, v109                        // v109 = v109 / 16
                                                   // v109 = v109 * 1 (multiplier is 1, do nothing)
v_cmp_ge_i32 s[42:43], v109, s[sgprLoopCounterL]   // check K index >= Size L
v_cndmask_b32 v[vgprValuB_X0_I0+0+0+0+0], v[vgprValuB_X0_I0+0+0+0+0], 0x0, s[42:43] // set 0 if K_idx >= sizeL
v_cndmask_b32 v[vgprValuB_X0_I0+2+0+0+0], v[vgprValuB_X0_I0+2+0+0+0], 0x0, s[42:43] // set 0 if K_idx >= sizeL
	;; [unrolled: 1-line block ×8, first 2 shown]
s_nop 1
v_mfma_f64_16x16x4f64 a[0+0:7+0], v[vgprValuB_X0_I0+0+0+0:vgprValuB_X0_I0+0+0+0+1], v[vgprValuA_X0_I0+0+0+0:vgprValuA_X0_I0+0+0+0+1], a[0:7]
v_mfma_f64_16x16x4f64 a[8+0:15+0], v[vgprValuB_X0_I0+0+0+0:vgprValuB_X0_I0+0+0+0+1], v[vgprValuA_X0_I0+2+0+0:vgprValuA_X0_I0+2+0+0+1], a[8:15]
v_mfma_f64_16x16x4f64 a[16+0:23+0], v[vgprValuB_X0_I0+0+0+0:vgprValuB_X0_I0+0+0+0+1], v[vgprValuA_X0_I0+4+0+0:vgprValuA_X0_I0+4+0+0+1], a[16:23]
v_mfma_f64_16x16x4f64 a[24+0:31+0], v[vgprValuB_X0_I0+0+0+0:vgprValuB_X0_I0+0+0+0+1], v[vgprValuA_X0_I0+6+0+0:vgprValuA_X0_I0+6+0+0+1], a[24:31]
v_mfma_f64_16x16x4f64 a[56+0:63+0], v[vgprValuB_X0_I0+2+0+0:vgprValuB_X0_I0+2+0+0+1], v[vgprValuA_X0_I0+6+0+0:vgprValuA_X0_I0+6+0+0+1], a[56:63]
v_mfma_f64_16x16x4f64 a[48+0:55+0], v[vgprValuB_X0_I0+2+0+0:vgprValuB_X0_I0+2+0+0+1], v[vgprValuA_X0_I0+4+0+0:vgprValuA_X0_I0+4+0+0+1], a[48:55]
v_mfma_f64_16x16x4f64 a[40+0:47+0], v[vgprValuB_X0_I0+2+0+0:vgprValuB_X0_I0+2+0+0+1], v[vgprValuA_X0_I0+2+0+0:vgprValuA_X0_I0+2+0+0+1], a[40:47]
v_mfma_f64_16x16x4f64 a[32+0:39+0], v[vgprValuB_X0_I0+2+0+0:vgprValuB_X0_I0+2+0+0+1], v[vgprValuA_X0_I0+0+0+0:vgprValuA_X0_I0+0+0+0+1], a[32:39]
v_mfma_f64_16x16x4f64 a[64+0:71+0], v[vgprValuB_X0_I0+4+0+0:vgprValuB_X0_I0+4+0+0+1], v[vgprValuA_X0_I0+0+0+0:vgprValuA_X0_I0+0+0+0+1], a[64:71]
v_mfma_f64_16x16x4f64 a[72+0:79+0], v[vgprValuB_X0_I0+4+0+0:vgprValuB_X0_I0+4+0+0+1], v[vgprValuA_X0_I0+2+0+0:vgprValuA_X0_I0+2+0+0+1], a[72:79]
v_mfma_f64_16x16x4f64 a[80+0:87+0], v[vgprValuB_X0_I0+4+0+0:vgprValuB_X0_I0+4+0+0+1], v[vgprValuA_X0_I0+4+0+0:vgprValuA_X0_I0+4+0+0+1], a[80:87]
v_mfma_f64_16x16x4f64 a[88+0:95+0], v[vgprValuB_X0_I0+4+0+0:vgprValuB_X0_I0+4+0+0+1], v[vgprValuA_X0_I0+6+0+0:vgprValuA_X0_I0+6+0+0+1], a[88:95]
v_mfma_f64_16x16x4f64 a[120+0:127+0], v[vgprValuB_X0_I0+6+0+0:vgprValuB_X0_I0+6+0+0+1], v[vgprValuA_X0_I0+6+0+0:vgprValuA_X0_I0+6+0+0+1], a[120:127]
v_mfma_f64_16x16x4f64 a[112+0:119+0], v[vgprValuB_X0_I0+6+0+0:vgprValuB_X0_I0+6+0+0+1], v[vgprValuA_X0_I0+4+0+0:vgprValuA_X0_I0+4+0+0+1], a[112:119]
v_mfma_f64_16x16x4f64 a[104+0:111+0], v[vgprValuB_X0_I0+6+0+0:vgprValuB_X0_I0+6+0+0+1], v[vgprValuA_X0_I0+2+0+0:vgprValuA_X0_I0+2+0+0+1], a[104:111]
v_mfma_f64_16x16x4f64 a[96+0:103+0], v[vgprValuB_X0_I0+6+0+0:vgprValuB_X0_I0+6+0+0+1], v[vgprValuA_X0_I0+0+0+0:vgprValuA_X0_I0+0+0+0+1], a[96:103]


/* closeLoop loopL finalLoop=1 tailLoop=1 */
s_sub_i32 s[sgprLoopCounterL], s[sgprLoopCounterL], 0x4 // dec counterL (tailLoop)
s_add_u32 s[sgprOrigLoopCounter], s[sgprOrigLoopCounter], 0x4 // inc counterL
s_cmp_le_i32 s[sgprLoopCounterL], 0x0              // counterL<=0
s_cbranch_scc0 TailLoopBeginL_6                    // restart LoopL
TailLoopEndL_7:

SkipTailLoopL_8:

Summation_End_20:
s_setprio 0                                        // optimization store
/* endSummation: add vgpr [0...106) to pool */
.set NumFullBlocks, UNDEF
.set WgmRemainder1, UNDEF
.set MagicNumberWgmRemainder1, UNDEF

/* Mapping of Acc register -> C Vgpr register */


/* shift vector components d0 */

v_mov_b32 v1, s[sgprWorkGroup0]                    // 
v_mul_i32_i24 v1, -0x80, v1                        // wg*MT
_v_add_co_u32 v1, vcc, s[sgprSizesFree+0], v1      // wgMT = Size - wg*MT
v_mov_b32 v2, 0x80                                 // MT
v_min_u32 v1, v2, v1                               // wgMT = (wgMT < MT) ? wgMT : MT
v_lshrrev_b32 v0, 6, v[vgprSerial]                 // v0 = v[vgprSerial] / 64
v_and_b32 v3, 1, v0                                // v3 = v0 % 2
v_lshrrev_b32 v0, 5, v1                            // v0 = v1 / 32
v_and_b32 v4, 1, v0                                // v4 = v0 % 2
v_cmp_eq_u32 s[10:11], v4, v3                      // wave_id == block_belong_to_wave?
v_cndmask_b32 v1, v2, v1, s[10:11]                 // wgMT = (wgMT < MT) ? wgMT : MT

/* mbReg: which mb block need to shift, mb(matrixInstCoal(16) * VectorWidth(2)) */
v_lshrrev_b32 v2, 5, v1                            // v2 = v1 / 32
v_lshlrev_b32 v4, 0x0, v3                          // v4 = v3 * 1
_v_sub_u32 v2, v2, v4                              // 

/* gbReg: glvw block id */
v_lshrrev_b32 v4, 1, v1                            // v4 = v1 / 2

/* tgbReg: glvw block id */
v_lshrrev_b32 v0, 0, v[vgprSerial]                 // v0 = v[vgprSerial] / 1
v_and_b32 v5, 15, v0                               // v5 = v0 % 16
v_lshlrev_b32 v5, 0x1, v5                          // v5 = v5 * 2
v_lshrrev_b32 v5, 1, v5                            // v5 = v5 / 2
v_lshlrev_b32 v3, 0x4, v3                          // v3 = v3 * 16
_v_add_co_u32 v5, vcc, v3, v5                      // tgbReg = (tid_coal * continOut) / GLVW
_v_sub_u32 v4, v4, v5                              // 

/* vwReg: glvw in which vw block? */
v_and_b32 v3, 1, v1                                // permute register between threads
v_lshrrev_b32 v3, 1, v3                            // permute register between threads

/* rReg : reminder of M_size % GlobalLoadVectorWidth */
v_and_b32 v5, 1, v1                                // v5 = v1 % 2
v_cmp_eq_u32 vcc, v5, 0x1                          // wgMT%VW == 1
s_cbranch_vccnz label_0021                         // branch to shift d0 r=1
s_branch label_0026                                // no shifting

/******************************************/
/* shift d0 r=1                           */
/******************************************/
label_0021:
v_cmp_eq_u32 vcc, v2, 0x0                          // 
s_cbranch_vccnz label_0022                         // branch to shift d0 r1 mb0
v_cmp_eq_u32 vcc, v2, 0x2                          // 
s_cbranch_vccnz label_0024                         // branch to shift d0 r1 mb1

/******************************************/
/* shift d0 r=1 mb=0                      */
/******************************************/
label_0022: // r1 mb0 
v_cmp_eq_u32 vcc, v3, 0x0                          // 
s_cbranch_vccnz label_0023                         // branch to shift d0 r1 mb0 vw0

/******************************************/
/* shift d0 r=1 mb=1                      */
/******************************************/
label_0024: // r1 mb1 
v_cmp_eq_u32 vcc, v3, 0x0                          // 
s_cbranch_vccnz label_0025                         // branch to shift d0 r1 mb1 vw0

/******************************************/
/* shift d0 r=1 mb=0 vw0                  */
/******************************************/
label_0023: // r1 mb0 vw0 
s_mov_b32 s10, 0                                   // 
_v_cmpx_eq_u32 s[10:11], v4, s10                   // is thread in edge glvw region
v_and_b32 v0, 63, v[vgprSerial]                    // permute register between threads
v_lshlrev_b32 v0, 2, v0                            // permute register between threads
v_accvgpr_read_b32 v5, acc8                        // glvw 1 mb 0 tt1 0 r 0
s_nop 1                                            // v_accvgpr read vgpr after write vgpr: 2 wait states
v_accvgpr_write_b32 acc0, v5                       // 
v_accvgpr_read_b32 v5, acc9                        // glvw 1 mb 0 tt1 0 r 1
s_nop 1                                            // v_accvgpr read vgpr after write vgpr: 2 wait states
v_accvgpr_write_b32 acc1, v5                       // 
v_accvgpr_read_b32 v5, acc10                       // glvw 1 mb 0 tt1 1 r 0
s_nop 1                                            // v_accvgpr read vgpr after write vgpr: 2 wait states
v_accvgpr_write_b32 acc2, v5                       // 
v_accvgpr_read_b32 v5, acc11                       // glvw 1 mb 0 tt1 1 r 1
s_nop 1                                            // v_accvgpr read vgpr after write vgpr: 2 wait states
v_accvgpr_write_b32 acc3, v5                       // 
v_accvgpr_read_b32 v5, acc12                       // glvw 1 mb 0 tt1 2 r 0
s_nop 1                                            // v_accvgpr read vgpr after write vgpr: 2 wait states
v_accvgpr_write_b32 acc4, v5                       // 
v_accvgpr_read_b32 v5, acc13                       // glvw 1 mb 0 tt1 2 r 1
s_nop 1                                            // v_accvgpr read vgpr after write vgpr: 2 wait states
v_accvgpr_write_b32 acc5, v5                       // 
v_accvgpr_read_b32 v5, acc14                       // glvw 1 mb 0 tt1 3 r 0
s_nop 1                                            // v_accvgpr read vgpr after write vgpr: 2 wait states
v_accvgpr_write_b32 acc6, v5                       // 
v_accvgpr_read_b32 v5, acc15                       // glvw 1 mb 0 tt1 3 r 1
s_nop 1                                            // v_accvgpr read vgpr after write vgpr: 2 wait states
v_accvgpr_write_b32 acc7, v5                       // 
v_accvgpr_read_b32 v5, acc40                       // glvw 1 mb 0 tt1 4 r 0
s_nop 1                                            // v_accvgpr read vgpr after write vgpr: 2 wait states
v_accvgpr_write_b32 acc32, v5                      // 
v_accvgpr_read_b32 v5, acc41                       // glvw 1 mb 0 tt1 4 r 1
s_nop 1                                            // v_accvgpr read vgpr after write vgpr: 2 wait states
v_accvgpr_write_b32 acc33, v5                      // 
v_accvgpr_read_b32 v5, acc42                       // glvw 1 mb 0 tt1 5 r 0
s_nop 1                                            // v_accvgpr read vgpr after write vgpr: 2 wait states
v_accvgpr_write_b32 acc34, v5                      // 
v_accvgpr_read_b32 v5, acc43                       // glvw 1 mb 0 tt1 5 r 1
s_nop 1                                            // v_accvgpr read vgpr after write vgpr: 2 wait states
v_accvgpr_write_b32 acc35, v5                      // 
v_accvgpr_read_b32 v5, acc44                       // glvw 1 mb 0 tt1 6 r 0
s_nop 1                                            // v_accvgpr read vgpr after write vgpr: 2 wait states
v_accvgpr_write_b32 acc36, v5                      // 
v_accvgpr_read_b32 v5, acc45                       // glvw 1 mb 0 tt1 6 r 1
s_nop 1                                            // v_accvgpr read vgpr after write vgpr: 2 wait states
v_accvgpr_write_b32 acc37, v5                      // 
v_accvgpr_read_b32 v5, acc46                       // glvw 1 mb 0 tt1 7 r 0
s_nop 1                                            // v_accvgpr read vgpr after write vgpr: 2 wait states
v_accvgpr_write_b32 acc38, v5                      // 
v_accvgpr_read_b32 v5, acc47                       // glvw 1 mb 0 tt1 7 r 1
s_nop 1                                            // v_accvgpr read vgpr after write vgpr: 2 wait states
v_accvgpr_write_b32 acc39, v5                      // 
v_accvgpr_read_b32 v5, acc72                       // glvw 1 mb 0 tt1 8 r 0
s_nop 1                                            // v_accvgpr read vgpr after write vgpr: 2 wait states
v_accvgpr_write_b32 acc64, v5                      // 
v_accvgpr_read_b32 v5, acc73                       // glvw 1 mb 0 tt1 8 r 1
s_nop 1                                            // v_accvgpr read vgpr after write vgpr: 2 wait states
v_accvgpr_write_b32 acc65, v5                      // 
v_accvgpr_read_b32 v5, acc74                       // glvw 1 mb 0 tt1 9 r 0
s_nop 1                                            // v_accvgpr read vgpr after write vgpr: 2 wait states
v_accvgpr_write_b32 acc66, v5                      // 
v_accvgpr_read_b32 v5, acc75                       // glvw 1 mb 0 tt1 9 r 1
s_nop 1                                            // v_accvgpr read vgpr after write vgpr: 2 wait states
v_accvgpr_write_b32 acc67, v5                      // 
v_accvgpr_read_b32 v5, acc76                       // glvw 1 mb 0 tt1 10 r 0
s_nop 1                                            // v_accvgpr read vgpr after write vgpr: 2 wait states
v_accvgpr_write_b32 acc68, v5                      // 
v_accvgpr_read_b32 v5, acc77                       // glvw 1 mb 0 tt1 10 r 1
s_nop 1                                            // v_accvgpr read vgpr after write vgpr: 2 wait states
v_accvgpr_write_b32 acc69, v5                      // 
v_accvgpr_read_b32 v5, acc78                       // glvw 1 mb 0 tt1 11 r 0
s_nop 1                                            // v_accvgpr read vgpr after write vgpr: 2 wait states
v_accvgpr_write_b32 acc70, v5                      // 
v_accvgpr_read_b32 v5, acc79                       // glvw 1 mb 0 tt1 11 r 1
s_nop 1                                            // v_accvgpr read vgpr after write vgpr: 2 wait states
v_accvgpr_write_b32 acc71, v5                      // 
v_accvgpr_read_b32 v5, acc104                      // glvw 1 mb 0 tt1 12 r 0
s_nop 1                                            // v_accvgpr read vgpr after write vgpr: 2 wait states
v_accvgpr_write_b32 acc96, v5                      // 
v_accvgpr_read_b32 v5, acc105                      // glvw 1 mb 0 tt1 12 r 1
s_nop 1                                            // v_accvgpr read vgpr after write vgpr: 2 wait states
v_accvgpr_write_b32 acc97, v5                      // 
v_accvgpr_read_b32 v5, acc106                      // glvw 1 mb 0 tt1 13 r 0
s_nop 1                                            // v_accvgpr read vgpr after write vgpr: 2 wait states
v_accvgpr_write_b32 acc98, v5                      // 
v_accvgpr_read_b32 v5, acc107                      // glvw 1 mb 0 tt1 13 r 1
s_nop 1                                            // v_accvgpr read vgpr after write vgpr: 2 wait states
v_accvgpr_write_b32 acc99, v5                      // 
v_accvgpr_read_b32 v5, acc108                      // glvw 1 mb 0 tt1 14 r 0
s_nop 1                                            // v_accvgpr read vgpr after write vgpr: 2 wait states
v_accvgpr_write_b32 acc100, v5                     // 
v_accvgpr_read_b32 v5, acc109                      // glvw 1 mb 0 tt1 14 r 1
s_nop 1                                            // v_accvgpr read vgpr after write vgpr: 2 wait states
v_accvgpr_write_b32 acc101, v5                     // 
v_accvgpr_read_b32 v5, acc110                      // glvw 1 mb 0 tt1 15 r 0
s_nop 1                                            // v_accvgpr read vgpr after write vgpr: 2 wait states
v_accvgpr_write_b32 acc102, v5                     // 
v_accvgpr_read_b32 v5, acc111                      // glvw 1 mb 0 tt1 15 r 1
s_nop 1                                            // v_accvgpr read vgpr after write vgpr: 2 wait states
v_accvgpr_write_b32 acc103, v5                     // 
s_mov_b64 s[10:11], 0xFFFFFFFFFFFFFFFF             // to restore all threads active
s_or_saveexec_b64 vcc, s[10:11]                    // all threads active
s_branch label_0026                                // done shifting


/******************************************/
/* shift d0 r=1 mb=1 vw0                  */
/******************************************/
label_0025: // r1 mb1 vw0 
s_mov_b32 s10, 32                                  // 
_v_cmpx_eq_u32 s[10:11], v4, s10                   // is thread in edge glvw region
v_and_b32 v0, 63, v[vgprSerial]                    // permute register between threads
v_lshlrev_b32 v0, 2, v0                            // permute register between threads
v_accvgpr_read_b32 v5, acc24                       // glvw 1 mb 1 tt1 0 r 0
s_nop 1                                            // v_accvgpr read vgpr after write vgpr: 2 wait states
v_accvgpr_write_b32 acc16, v5                      // 
v_accvgpr_read_b32 v5, acc25                       // glvw 1 mb 1 tt1 0 r 1
s_nop 1                                            // v_accvgpr read vgpr after write vgpr: 2 wait states
v_accvgpr_write_b32 acc17, v5                      // 
v_accvgpr_read_b32 v5, acc26                       // glvw 1 mb 1 tt1 1 r 0
s_nop 1                                            // v_accvgpr read vgpr after write vgpr: 2 wait states
v_accvgpr_write_b32 acc18, v5                      // 
v_accvgpr_read_b32 v5, acc27                       // glvw 1 mb 1 tt1 1 r 1
s_nop 1                                            // v_accvgpr read vgpr after write vgpr: 2 wait states
v_accvgpr_write_b32 acc19, v5                      // 
v_accvgpr_read_b32 v5, acc28                       // glvw 1 mb 1 tt1 2 r 0
s_nop 1                                            // v_accvgpr read vgpr after write vgpr: 2 wait states
v_accvgpr_write_b32 acc20, v5                      // 
v_accvgpr_read_b32 v5, acc29                       // glvw 1 mb 1 tt1 2 r 1
s_nop 1                                            // v_accvgpr read vgpr after write vgpr: 2 wait states
v_accvgpr_write_b32 acc21, v5                      // 
v_accvgpr_read_b32 v5, acc30                       // glvw 1 mb 1 tt1 3 r 0
s_nop 1                                            // v_accvgpr read vgpr after write vgpr: 2 wait states
v_accvgpr_write_b32 acc22, v5                      // 
v_accvgpr_read_b32 v5, acc31                       // glvw 1 mb 1 tt1 3 r 1
s_nop 1                                            // v_accvgpr read vgpr after write vgpr: 2 wait states
v_accvgpr_write_b32 acc23, v5                      // 
v_accvgpr_read_b32 v5, acc56                       // glvw 1 mb 1 tt1 4 r 0
s_nop 1                                            // v_accvgpr read vgpr after write vgpr: 2 wait states
v_accvgpr_write_b32 acc48, v5                      // 
v_accvgpr_read_b32 v5, acc57                       // glvw 1 mb 1 tt1 4 r 1
s_nop 1                                            // v_accvgpr read vgpr after write vgpr: 2 wait states
v_accvgpr_write_b32 acc49, v5                      // 
v_accvgpr_read_b32 v5, acc58                       // glvw 1 mb 1 tt1 5 r 0
s_nop 1                                            // v_accvgpr read vgpr after write vgpr: 2 wait states
v_accvgpr_write_b32 acc50, v5                      // 
v_accvgpr_read_b32 v5, acc59                       // glvw 1 mb 1 tt1 5 r 1
s_nop 1                                            // v_accvgpr read vgpr after write vgpr: 2 wait states
v_accvgpr_write_b32 acc51, v5                      // 
v_accvgpr_read_b32 v5, acc60                       // glvw 1 mb 1 tt1 6 r 0
s_nop 1                                            // v_accvgpr read vgpr after write vgpr: 2 wait states
v_accvgpr_write_b32 acc52, v5                      // 
v_accvgpr_read_b32 v5, acc61                       // glvw 1 mb 1 tt1 6 r 1
s_nop 1                                            // v_accvgpr read vgpr after write vgpr: 2 wait states
v_accvgpr_write_b32 acc53, v5                      // 
v_accvgpr_read_b32 v5, acc62                       // glvw 1 mb 1 tt1 7 r 0
s_nop 1                                            // v_accvgpr read vgpr after write vgpr: 2 wait states
v_accvgpr_write_b32 acc54, v5                      // 
v_accvgpr_read_b32 v5, acc63                       // glvw 1 mb 1 tt1 7 r 1
s_nop 1                                            // v_accvgpr read vgpr after write vgpr: 2 wait states
v_accvgpr_write_b32 acc55, v5                      // 
v_accvgpr_read_b32 v5, acc88                       // glvw 1 mb 1 tt1 8 r 0
s_nop 1                                            // v_accvgpr read vgpr after write vgpr: 2 wait states
v_accvgpr_write_b32 acc80, v5                      // 
v_accvgpr_read_b32 v5, acc89                       // glvw 1 mb 1 tt1 8 r 1
s_nop 1                                            // v_accvgpr read vgpr after write vgpr: 2 wait states
v_accvgpr_write_b32 acc81, v5                      // 
v_accvgpr_read_b32 v5, acc90                       // glvw 1 mb 1 tt1 9 r 0
s_nop 1                                            // v_accvgpr read vgpr after write vgpr: 2 wait states
v_accvgpr_write_b32 acc82, v5                      // 
v_accvgpr_read_b32 v5, acc91                       // glvw 1 mb 1 tt1 9 r 1
s_nop 1                                            // v_accvgpr read vgpr after write vgpr: 2 wait states
v_accvgpr_write_b32 acc83, v5                      // 
v_accvgpr_read_b32 v5, acc92                       // glvw 1 mb 1 tt1 10 r 0
s_nop 1                                            // v_accvgpr read vgpr after write vgpr: 2 wait states
v_accvgpr_write_b32 acc84, v5                      // 
v_accvgpr_read_b32 v5, acc93                       // glvw 1 mb 1 tt1 10 r 1
s_nop 1                                            // v_accvgpr read vgpr after write vgpr: 2 wait states
v_accvgpr_write_b32 acc85, v5                      // 
v_accvgpr_read_b32 v5, acc94                       // glvw 1 mb 1 tt1 11 r 0
s_nop 1                                            // v_accvgpr read vgpr after write vgpr: 2 wait states
v_accvgpr_write_b32 acc86, v5                      // 
v_accvgpr_read_b32 v5, acc95                       // glvw 1 mb 1 tt1 11 r 1
s_nop 1                                            // v_accvgpr read vgpr after write vgpr: 2 wait states
v_accvgpr_write_b32 acc87, v5                      // 
v_accvgpr_read_b32 v5, acc120                      // glvw 1 mb 1 tt1 12 r 0
s_nop 1                                            // v_accvgpr read vgpr after write vgpr: 2 wait states
v_accvgpr_write_b32 acc112, v5                     // 
v_accvgpr_read_b32 v5, acc121                      // glvw 1 mb 1 tt1 12 r 1
s_nop 1                                            // v_accvgpr read vgpr after write vgpr: 2 wait states
v_accvgpr_write_b32 acc113, v5                     // 
v_accvgpr_read_b32 v5, acc122                      // glvw 1 mb 1 tt1 13 r 0
s_nop 1                                            // v_accvgpr read vgpr after write vgpr: 2 wait states
v_accvgpr_write_b32 acc114, v5                     // 
v_accvgpr_read_b32 v5, acc123                      // glvw 1 mb 1 tt1 13 r 1
s_nop 1                                            // v_accvgpr read vgpr after write vgpr: 2 wait states
v_accvgpr_write_b32 acc115, v5                     // 
v_accvgpr_read_b32 v5, acc124                      // glvw 1 mb 1 tt1 14 r 0
s_nop 1                                            // v_accvgpr read vgpr after write vgpr: 2 wait states
v_accvgpr_write_b32 acc116, v5                     // 
v_accvgpr_read_b32 v5, acc125                      // glvw 1 mb 1 tt1 14 r 1
s_nop 1                                            // v_accvgpr read vgpr after write vgpr: 2 wait states
v_accvgpr_write_b32 acc117, v5                     // 
v_accvgpr_read_b32 v5, acc126                      // glvw 1 mb 1 tt1 15 r 0
s_nop 1                                            // v_accvgpr read vgpr after write vgpr: 2 wait states
v_accvgpr_write_b32 acc118, v5                     // 
v_accvgpr_read_b32 v5, acc127                      // glvw 1 mb 1 tt1 15 r 1
s_nop 1                                            // v_accvgpr read vgpr after write vgpr: 2 wait states
v_accvgpr_write_b32 acc119, v5                     // 
s_mov_b64 s[10:11], 0xFFFFFFFFFFFFFFFF             // to restore all threads active
s_or_saveexec_b64 vcc, s[10:11]                    // all threads active
s_branch label_0026                                // done shifting

label_0026: // end shift0


	;; [unrolled: 1-line block ×3, first 2 shown]
/* not-LocalSplitU: global write indices */

/* computeStoreVgprs */
v_lshrrev_b32 v4, 6, v[vgprSerial]                 // v4 = v[vgprSerial] / 64
v_and_b32 v1, 63, v[vgprSerial]                    // v1 = v[vgprSerial] % 64
v_lshrrev_b32 v1, 4, v1                            // v1 = v1 / 16
                                                   // thread0 * continuous_output (multiplier is 1, do nothing)
v_lshrrev_b32 v5, 1, v4                            // v5 = v4 / 2
v_mul_lo_u32 v5, 0x10, v5                          // wave coordination offset 1
_v_add_lshl_u32 v1, v5, v1, 0                      // coordination 1 = vwb *(wave_id1 + tid1)
v_mul_lo_u32 v2, v1, s[sgprStrideC1J]              //  offset 1
v_mul_lo_u32 v3, v1, s[sgprStrideD1J]              //  offset 1
v_and_b32 v5, 1, v4                                // v5 = v4 % 2
v_mul_lo_u32 v5, 0x10, v5                          // wave coordination offset 0
v_and_b32 v0, 15, v[vgprSerial]                    // v0 = v[vgprSerial] % 16
_v_add_lshl_u32 v0, v5, v0, 1                      // coordination 0 = vwa *(wave_id0 + tid0)
s_mul_i32 s10, 128, s[sgprWorkGroup0]              // wgp0 * MT0
_v_add_u32 v0, s10, v0                             // coord 0 = (tid0/MI_m)*4 + waveG0*MIB_m + MT0*SG0
s_mul_i32 s10, 128, s[sgprWorkGroup1]              // wgp1 * MT1
_v_add_u32 v1, s10, v1                             // coord 1 = (tid0%MI_m) + waveG1*MIB_n + MT1*SG1


/* not-LocalSplitU: global write */

s_and_b32 s42, 127, s[sgprSizeI]                   // s42 = s[sgprSizeI] % 128
s_add_u32 s43, -0x1, s[sgprNumWorkGroups0]         // 
s_cmp_ge_u32 s[sgprWorkGroup0], s43                // wg0 >= nwg0-1 ?
s_cselect_b32 s42, s42, 0                          // set rMT0
s_cmpk_gt_u32 s42, 0x0                             // rMT0 > 0
s_cbranch_scc1 GW_B0_E1_36                         // jump if edges required
s_and_b32 s42, 127, s[sgprSizeJ]                   // s42 = s[sgprSizeJ] % 128
s_add_u32 s43, -0x1, s[sgprNumWorkGroups1]         // 
s_cmp_ge_u32 s[sgprWorkGroup1], s43                // wg1 >= nwg1-1
s_cselect_b32 s42, s42, 0                          // set rMT1
s_cmpk_gt_u32 s42, 0x0                             // rMT1 > 0
s_cbranch_scc1 GW_B0_E1_36                         // jump if edges required
GW_B0_E0_33:

/* edge=0, allocate 6 sgpr. perBatchTmpS=4 perBatchMaskS=0 perElementMaskS=2 elementsPerBatch=1 */
/* optSingleColVgpr=0 optSharedColVgpr=0 optSGPRUsage=None optSrdIncForRow=0 */

/******************************************/
/* Global Write Alpha Batch #0 (d1,d0,vc1,vc0) = */
/*    (0,0,0,0:vw1:vaw:1)                 */
/******************************************/

/* calc coords, apply mask, and issue loads (if necessary) */
/* (d1,vc1,d0,vc0)=(0,0,0,0) */
_v_add_lshl_u32 v6, v3, v0, 0x3                    // scaleToBpe: accumulate d0 lower and *= bpe into Cin addr
_buffer_load_b64 v[10:11], v6, s[sgprSrdD:sgprSrdD+3], 0, offen offset:0 // load D (atomic) bpm=8 vaw=1
v_accvgpr_read_b32 v[vgprValuC+12], acc0 // copy acc to vreg[0]
v_accvgpr_read_b32 v[vgprValuC+13], acc1 // copy acc to vreg[1]
s_nop 1                                            // 2 wait states required before reading vgpr

/* rC *= alpha batchElements=[(0, 0, 0, 0)] */
v_mul_f64 v[vgprValuC+12:vgprValuC+12+1], s[sgprAlpha:sgprAlpha+1], v[vgprValuC+12:vgprValuC+12+1] // *= alpha
s_waitcnt vmcnt(0)                                 // wait C (atomic)

/* issue first atomic writes */
v_add_f64 v[8:9], v[10:11], v[vgprValuC+12:vgprValuC+12+1] // desired value
_buffer_atomic_cmpswap_b64 v[8:11], v6, s[sgprSrdD:sgprSrdD+3] 0 offen offset:0 glc   // attempt write
s_waitcnt vmcnt(0)                                 // wait for atomic writes

/* check success of writes, update masks */
v_cmp_ne_u64 s[46:47], v[8:9], v[10:11]            // c read during atomic != c read during prior load

/* or masks to check for exit */
s_mov_b64 s[42:43], 0x0                            // empty mask
s_or_b64 s[42:43], s[46:47], s[42:43]              // or to add threads
s_or_saveexec_b64 s[44:45], s[42:43]               // apply combined mask
s_cbranch_execz label_0044                         // if exec is zero skip loop

/* atomic CAS loop */
label_0043:

/* apply updated masks and issue writes again */
s_mov_b64 exec, s[46:47]                           // must try again
v_mov_b32 v10, v8                                  // dataV+2 = tmp (new original C)
v_mov_b32 v11, v9                                  // dataV+3 = tmp (new original C)
v_add_f64 v[8:9], v[10:11], v[vgprValuC+12:vgprValuC+12+1] // newC = rC + originalC
_buffer_atomic_cmpswap_b64 v[8:11], v6, s[sgprSrdD:sgprSrdD+3] 0 offen offset:0 glc   // attempt write
s_waitcnt vmcnt(0)                                 // wait for atomic writes

/* apply masks and check for success */
s_mov_b64 exec, s[46:47]                           // must try again
v_cmp_ne_u64 s[42:43], v[8:9], v[10:11]            // c read during atomic != c read during prior load
s_and_b64 s[46:47], s[42:43], s[46:47]             // inBounds & must try again

/* or masks to check for exit */
s_mov_b64 s[42:43], 0x0                            // empty mask
s_or_b64 s[42:43], s[46:47], s[42:43]              // or to add threads
s_or_saveexec_b64 s[44:45], s[42:43]               // apply combined mask
s_cbranch_execnz label_0043                        // try again if not complete
label_0044:
s_mov_b64 exec, -1                                 // full mask -> exec
s_nop 0                                            // 1 wait state required when next inst writes vgprs held by previous dwordx4 store inst
/* optSingleColVgpr=0 optSharedColVgpr=0 optSGPRUsage=None optSrdIncForRow=0 */

/******************************************/
/* Global Write Alpha Batch #1 (d1,d0,vc1,vc0) = */
/*    (0,0,0,1:vw1:vaw:1)                 */
/******************************************/

/* calc coords, apply mask, and issue loads (if necessary) */
/* (d1,vc1,d0,vc0)=(0,0,0,1) */
_v_add_co_u32 v4, vcc, v0, 1                       // coord0.1: coord0 += d0*sg0*VW + vc0
_v_add_lshl_u32 v6, v3, v4, 0x3                    // scaleToBpe: accumulate d0 lower and *= bpe into Cin addr
_buffer_load_b64 v[10:11], v6, s[sgprSrdD:sgprSrdD+3], 0, offen offset:0 // load D (atomic) bpm=8 vaw=1
v_accvgpr_read_b32 v[vgprValuC+12], acc8 // copy acc to vreg[2]
v_accvgpr_read_b32 v[vgprValuC+13], acc9 // copy acc to vreg[3]
s_nop 1                                            // 2 wait states required before reading vgpr

/* rC *= alpha batchElements=[(0, 0, 0, 1)] */
v_mul_f64 v[vgprValuC+12:vgprValuC+12+1], s[sgprAlpha:sgprAlpha+1], v[vgprValuC+12:vgprValuC+12+1] // *= alpha
s_waitcnt vmcnt(0)                                 // wait C (atomic)

/* issue first atomic writes */
v_add_f64 v[8:9], v[10:11], v[vgprValuC+12:vgprValuC+12+1] // desired value
_buffer_atomic_cmpswap_b64 v[8:11], v6, s[sgprSrdD:sgprSrdD+3] 0 offen offset:0 glc   // attempt write
s_waitcnt vmcnt(0)                                 // wait for atomic writes

/* check success of writes, update masks */
v_cmp_ne_u64 s[46:47], v[8:9], v[10:11]            // c read during atomic != c read during prior load

/* or masks to check for exit */
s_mov_b64 s[42:43], 0x0                            // empty mask
s_or_b64 s[42:43], s[46:47], s[42:43]              // or to add threads
s_or_saveexec_b64 s[44:45], s[42:43]               // apply combined mask
s_cbranch_execz label_0046                         // if exec is zero skip loop

/* atomic CAS loop */
label_0045:

/* apply updated masks and issue writes again */
s_mov_b64 exec, s[46:47]                           // must try again
v_mov_b32 v10, v8                                  // dataV+2 = tmp (new original C)
v_mov_b32 v11, v9                                  // dataV+3 = tmp (new original C)
v_add_f64 v[8:9], v[10:11], v[vgprValuC+12:vgprValuC+12+1] // newC = rC + originalC
_buffer_atomic_cmpswap_b64 v[8:11], v6, s[sgprSrdD:sgprSrdD+3] 0 offen offset:0 glc   // attempt write
s_waitcnt vmcnt(0)                                 // wait for atomic writes

/* apply masks and check for success */
s_mov_b64 exec, s[46:47]                           // must try again
v_cmp_ne_u64 s[42:43], v[8:9], v[10:11]            // c read during atomic != c read during prior load
s_and_b64 s[46:47], s[42:43], s[46:47]             // inBounds & must try again

/* or masks to check for exit */
s_mov_b64 s[42:43], 0x0                            // empty mask
s_or_b64 s[42:43], s[46:47], s[42:43]              // or to add threads
s_or_saveexec_b64 s[44:45], s[42:43]               // apply combined mask
s_cbranch_execnz label_0045                        // try again if not complete
label_0046:
s_mov_b64 exec, -1                                 // full mask -> exec
s_nop 0                                            // 1 wait state required when next inst writes vgprs held by previous dwordx4 store inst
/* optSingleColVgpr=0 optSharedColVgpr=0 optSGPRUsage=None optSrdIncForRow=0 */

/******************************************/
/* Global Write Alpha Batch #2 (d1,d0,vc1,vc0) = */
/*    (0,1,0,0:vw1:vaw:1)                 */
/******************************************/

/* calc coords, apply mask, and issue loads (if necessary) */
/* (d1,vc1,d0,vc0)=(0,0,1,0) */
_v_add_co_u32 v4, vcc, v0, 64                      // coord0.1: coord0 += d0*sg0*VW + vc0
_v_add_lshl_u32 v6, v3, v4, 0x3                    // scaleToBpe: accumulate d0 lower and *= bpe into Cin addr
_buffer_load_b64 v[10:11], v6, s[sgprSrdD:sgprSrdD+3], 0, offen offset:0 // load D (atomic) bpm=8 vaw=1
v_accvgpr_read_b32 v[vgprValuC+12], acc16 // copy acc to vreg[4]
v_accvgpr_read_b32 v[vgprValuC+13], acc17 // copy acc to vreg[5]
s_nop 1                                            // 2 wait states required before reading vgpr

/* rC *= alpha batchElements=[(0, 1, 0, 0)] */
v_mul_f64 v[vgprValuC+12:vgprValuC+12+1], s[sgprAlpha:sgprAlpha+1], v[vgprValuC+12:vgprValuC+12+1] // *= alpha
s_waitcnt vmcnt(0)                                 // wait C (atomic)

/* issue first atomic writes */
v_add_f64 v[8:9], v[10:11], v[vgprValuC+12:vgprValuC+12+1] // desired value
_buffer_atomic_cmpswap_b64 v[8:11], v6, s[sgprSrdD:sgprSrdD+3] 0 offen offset:0 glc   // attempt write
s_waitcnt vmcnt(0)                                 // wait for atomic writes

/* check success of writes, update masks */
v_cmp_ne_u64 s[46:47], v[8:9], v[10:11]            // c read during atomic != c read during prior load

/* or masks to check for exit */
s_mov_b64 s[42:43], 0x0                            // empty mask
s_or_b64 s[42:43], s[46:47], s[42:43]              // or to add threads
s_or_saveexec_b64 s[44:45], s[42:43]               // apply combined mask
s_cbranch_execz label_0048                         // if exec is zero skip loop

/* atomic CAS loop */
label_0047:

/* apply updated masks and issue writes again */
s_mov_b64 exec, s[46:47]                           // must try again
v_mov_b32 v10, v8                                  // dataV+2 = tmp (new original C)
v_mov_b32 v11, v9                                  // dataV+3 = tmp (new original C)
v_add_f64 v[8:9], v[10:11], v[vgprValuC+12:vgprValuC+12+1] // newC = rC + originalC
_buffer_atomic_cmpswap_b64 v[8:11], v6, s[sgprSrdD:sgprSrdD+3] 0 offen offset:0 glc   // attempt write
s_waitcnt vmcnt(0)                                 // wait for atomic writes

/* apply masks and check for success */
s_mov_b64 exec, s[46:47]                           // must try again
v_cmp_ne_u64 s[42:43], v[8:9], v[10:11]            // c read during atomic != c read during prior load
s_and_b64 s[46:47], s[42:43], s[46:47]             // inBounds & must try again

/* or masks to check for exit */
s_mov_b64 s[42:43], 0x0                            // empty mask
s_or_b64 s[42:43], s[46:47], s[42:43]              // or to add threads
s_or_saveexec_b64 s[44:45], s[42:43]               // apply combined mask
s_cbranch_execnz label_0047                        // try again if not complete
label_0048:
s_mov_b64 exec, -1                                 // full mask -> exec
s_nop 0                                            // 1 wait state required when next inst writes vgprs held by previous dwordx4 store inst
/* optSingleColVgpr=0 optSharedColVgpr=0 optSGPRUsage=None optSrdIncForRow=0 */

/******************************************/
/* Global Write Alpha Batch #3 (d1,d0,vc1,vc0) = */
/*    (0,1,0,1:vw1:vaw:1)                 */
/******************************************/

/* calc coords, apply mask, and issue loads (if necessary) */
/* (d1,vc1,d0,vc0)=(0,0,1,1) */
s_mov_b32 s42, 65                                  // coordOffset0 d0=1 vc0=1
_v_add_co_u32 v4, vcc, v0, s42                     // coord0.2: coord0 += d0*sg0*VW + vc0
_v_add_lshl_u32 v6, v3, v4, 0x3                    // scaleToBpe: accumulate d0 lower and *= bpe into Cin addr
_buffer_load_b64 v[10:11], v6, s[sgprSrdD:sgprSrdD+3], 0, offen offset:0 // load D (atomic) bpm=8 vaw=1
v_accvgpr_read_b32 v[vgprValuC+12], acc24 // copy acc to vreg[6]
v_accvgpr_read_b32 v[vgprValuC+13], acc25 // copy acc to vreg[7]
s_nop 1                                            // 2 wait states required before reading vgpr

/* rC *= alpha batchElements=[(0, 1, 0, 1)] */
v_mul_f64 v[vgprValuC+12:vgprValuC+12+1], s[sgprAlpha:sgprAlpha+1], v[vgprValuC+12:vgprValuC+12+1] // *= alpha
s_waitcnt vmcnt(0)                                 // wait C (atomic)

/* issue first atomic writes */
v_add_f64 v[8:9], v[10:11], v[vgprValuC+12:vgprValuC+12+1] // desired value
_buffer_atomic_cmpswap_b64 v[8:11], v6, s[sgprSrdD:sgprSrdD+3] 0 offen offset:0 glc   // attempt write
s_waitcnt vmcnt(0)                                 // wait for atomic writes

/* check success of writes, update masks */
v_cmp_ne_u64 s[46:47], v[8:9], v[10:11]            // c read during atomic != c read during prior load

/* or masks to check for exit */
s_mov_b64 s[42:43], 0x0                            // empty mask
s_or_b64 s[42:43], s[46:47], s[42:43]              // or to add threads
s_or_saveexec_b64 s[44:45], s[42:43]               // apply combined mask
s_cbranch_execz label_0050                         // if exec is zero skip loop

/* atomic CAS loop */
label_0049:

/* apply updated masks and issue writes again */
s_mov_b64 exec, s[46:47]                           // must try again
v_mov_b32 v10, v8                                  // dataV+2 = tmp (new original C)
v_mov_b32 v11, v9                                  // dataV+3 = tmp (new original C)
v_add_f64 v[8:9], v[10:11], v[vgprValuC+12:vgprValuC+12+1] // newC = rC + originalC
_buffer_atomic_cmpswap_b64 v[8:11], v6, s[sgprSrdD:sgprSrdD+3] 0 offen offset:0 glc   // attempt write
s_waitcnt vmcnt(0)                                 // wait for atomic writes

/* apply masks and check for success */
s_mov_b64 exec, s[46:47]                           // must try again
v_cmp_ne_u64 s[42:43], v[8:9], v[10:11]            // c read during atomic != c read during prior load
s_and_b64 s[46:47], s[42:43], s[46:47]             // inBounds & must try again

/* or masks to check for exit */
s_mov_b64 s[42:43], 0x0                            // empty mask
s_or_b64 s[42:43], s[46:47], s[42:43]              // or to add threads
s_or_saveexec_b64 s[44:45], s[42:43]               // apply combined mask
s_cbranch_execnz label_0049                        // try again if not complete
label_0050:
s_mov_b64 exec, -1                                 // full mask -> exec
s_nop 0                                            // 1 wait state required when next inst writes vgprs held by previous dwordx4 store inst
/* optSingleColVgpr=0 optSharedColVgpr=0 optSGPRUsage=None optSrdIncForRow=0 */

/******************************************/
/* Global Write Alpha Batch #4 (d1,d0,vc1,vc0) = */
/*    (1,0,0,0:vw1:vaw:1)                 */
/******************************************/

/* calc coords, apply mask, and issue loads (if necessary) */
/* (d1,vc1,d0,vc0)=(1,0,0,0) */

/* Fix for UseInitialStridesCD, emitAddressSetupCode */
s_mul_i32 s42, s[sgprStrideC1J], 4                 // scale stride
_v_add_u32 v2, v2, s42                             // ROWINC- Move cinRowPtr to next row
s_mul_i32 s42, s[sgprStrideD1J], 4                 // scale stride
_v_add_u32 v3, v3, s42                             // Move coutRowPtr to next row
_v_add_lshl_u32 v6, v3, v0, 0x3                    // scaleToBpe: accumulate d0 lower and *= bpe into Cin addr
_buffer_load_b64 v[10:11], v6, s[sgprSrdD:sgprSrdD+3], 0, offen offset:0 // load D (atomic) bpm=8 vaw=1
v_accvgpr_read_b32 v[vgprValuC+12], acc2 // copy acc to vreg[8]
v_accvgpr_read_b32 v[vgprValuC+13], acc3 // copy acc to vreg[9]
s_nop 1                                            // 2 wait states required before reading vgpr

/* rC *= alpha batchElements=[(1, 0, 0, 0)] */
v_mul_f64 v[vgprValuC+12:vgprValuC+12+1], s[sgprAlpha:sgprAlpha+1], v[vgprValuC+12:vgprValuC+12+1] // *= alpha
s_waitcnt vmcnt(0)                                 // wait C (atomic)

/* issue first atomic writes */
v_add_f64 v[8:9], v[10:11], v[vgprValuC+12:vgprValuC+12+1] // desired value
_buffer_atomic_cmpswap_b64 v[8:11], v6, s[sgprSrdD:sgprSrdD+3] 0 offen offset:0 glc   // attempt write
s_waitcnt vmcnt(0)                                 // wait for atomic writes

/* check success of writes, update masks */
v_cmp_ne_u64 s[46:47], v[8:9], v[10:11]            // c read during atomic != c read during prior load

/* or masks to check for exit */
s_mov_b64 s[42:43], 0x0                            // empty mask
s_or_b64 s[42:43], s[46:47], s[42:43]              // or to add threads
s_or_saveexec_b64 s[44:45], s[42:43]               // apply combined mask
s_cbranch_execz label_0052                         // if exec is zero skip loop

/* atomic CAS loop */
label_0051:

/* apply updated masks and issue writes again */
s_mov_b64 exec, s[46:47]                           // must try again
v_mov_b32 v10, v8                                  // dataV+2 = tmp (new original C)
v_mov_b32 v11, v9                                  // dataV+3 = tmp (new original C)
v_add_f64 v[8:9], v[10:11], v[vgprValuC+12:vgprValuC+12+1] // newC = rC + originalC
_buffer_atomic_cmpswap_b64 v[8:11], v6, s[sgprSrdD:sgprSrdD+3] 0 offen offset:0 glc   // attempt write
s_waitcnt vmcnt(0)                                 // wait for atomic writes

/* apply masks and check for success */
s_mov_b64 exec, s[46:47]                           // must try again
v_cmp_ne_u64 s[42:43], v[8:9], v[10:11]            // c read during atomic != c read during prior load
s_and_b64 s[46:47], s[42:43], s[46:47]             // inBounds & must try again

/* or masks to check for exit */
s_mov_b64 s[42:43], 0x0                            // empty mask
s_or_b64 s[42:43], s[46:47], s[42:43]              // or to add threads
s_or_saveexec_b64 s[44:45], s[42:43]               // apply combined mask
s_cbranch_execnz label_0051                        // try again if not complete
label_0052:
s_mov_b64 exec, -1                                 // full mask -> exec
s_nop 0                                            // 1 wait state required when next inst writes vgprs held by previous dwordx4 store inst
/* optSingleColVgpr=0 optSharedColVgpr=0 optSGPRUsage=None optSrdIncForRow=0 */

/******************************************/
/* Global Write Alpha Batch #5 (d1,d0,vc1,vc0) = */
/*    (1,0,0,1:vw1:vaw:1)                 */
/******************************************/

/* calc coords, apply mask, and issue loads (if necessary) */
/* (d1,vc1,d0,vc0)=(1,0,0,1) */
_v_add_co_u32 v4, vcc, v0, 1                       // coord0.1: coord0 += d0*sg0*VW + vc0
_v_add_lshl_u32 v6, v3, v4, 0x3                    // scaleToBpe: accumulate d0 lower and *= bpe into Cin addr
_buffer_load_b64 v[10:11], v6, s[sgprSrdD:sgprSrdD+3], 0, offen offset:0 // load D (atomic) bpm=8 vaw=1
v_accvgpr_read_b32 v[vgprValuC+12], acc10 // copy acc to vreg[10]
v_accvgpr_read_b32 v[vgprValuC+13], acc11 // copy acc to vreg[11]
s_nop 1                                            // 2 wait states required before reading vgpr

/* rC *= alpha batchElements=[(1, 0, 0, 1)] */
v_mul_f64 v[vgprValuC+12:vgprValuC+12+1], s[sgprAlpha:sgprAlpha+1], v[vgprValuC+12:vgprValuC+12+1] // *= alpha
s_waitcnt vmcnt(0)                                 // wait C (atomic)

/* issue first atomic writes */
v_add_f64 v[8:9], v[10:11], v[vgprValuC+12:vgprValuC+12+1] // desired value
_buffer_atomic_cmpswap_b64 v[8:11], v6, s[sgprSrdD:sgprSrdD+3] 0 offen offset:0 glc   // attempt write
s_waitcnt vmcnt(0)                                 // wait for atomic writes

/* check success of writes, update masks */
v_cmp_ne_u64 s[46:47], v[8:9], v[10:11]            // c read during atomic != c read during prior load

/* or masks to check for exit */
s_mov_b64 s[42:43], 0x0                            // empty mask
s_or_b64 s[42:43], s[46:47], s[42:43]              // or to add threads
s_or_saveexec_b64 s[44:45], s[42:43]               // apply combined mask
s_cbranch_execz label_0054                         // if exec is zero skip loop

/* atomic CAS loop */
label_0053:

/* apply updated masks and issue writes again */
s_mov_b64 exec, s[46:47]                           // must try again
v_mov_b32 v10, v8                                  // dataV+2 = tmp (new original C)
v_mov_b32 v11, v9                                  // dataV+3 = tmp (new original C)
v_add_f64 v[8:9], v[10:11], v[vgprValuC+12:vgprValuC+12+1] // newC = rC + originalC
_buffer_atomic_cmpswap_b64 v[8:11], v6, s[sgprSrdD:sgprSrdD+3] 0 offen offset:0 glc   // attempt write
s_waitcnt vmcnt(0)                                 // wait for atomic writes

/* apply masks and check for success */
s_mov_b64 exec, s[46:47]                           // must try again
v_cmp_ne_u64 s[42:43], v[8:9], v[10:11]            // c read during atomic != c read during prior load
s_and_b64 s[46:47], s[42:43], s[46:47]             // inBounds & must try again

/* or masks to check for exit */
s_mov_b64 s[42:43], 0x0                            // empty mask
s_or_b64 s[42:43], s[46:47], s[42:43]              // or to add threads
s_or_saveexec_b64 s[44:45], s[42:43]               // apply combined mask
s_cbranch_execnz label_0053                        // try again if not complete
label_0054:
s_mov_b64 exec, -1                                 // full mask -> exec
s_nop 0                                            // 1 wait state required when next inst writes vgprs held by previous dwordx4 store inst
/* optSingleColVgpr=0 optSharedColVgpr=0 optSGPRUsage=None optSrdIncForRow=0 */

/******************************************/
/* Global Write Alpha Batch #6 (d1,d0,vc1,vc0) = */
/*    (1,1,0,0:vw1:vaw:1)                 */
/******************************************/

/* calc coords, apply mask, and issue loads (if necessary) */
/* (d1,vc1,d0,vc0)=(1,0,1,0) */
_v_add_co_u32 v4, vcc, v0, 64                      // coord0.1: coord0 += d0*sg0*VW + vc0
_v_add_lshl_u32 v6, v3, v4, 0x3                    // scaleToBpe: accumulate d0 lower and *= bpe into Cin addr
_buffer_load_b64 v[10:11], v6, s[sgprSrdD:sgprSrdD+3], 0, offen offset:0 // load D (atomic) bpm=8 vaw=1
v_accvgpr_read_b32 v[vgprValuC+12], acc18 // copy acc to vreg[12]
v_accvgpr_read_b32 v[vgprValuC+13], acc19 // copy acc to vreg[13]
s_nop 1                                            // 2 wait states required before reading vgpr

/* rC *= alpha batchElements=[(1, 1, 0, 0)] */
v_mul_f64 v[vgprValuC+12:vgprValuC+12+1], s[sgprAlpha:sgprAlpha+1], v[vgprValuC+12:vgprValuC+12+1] // *= alpha
s_waitcnt vmcnt(0)                                 // wait C (atomic)

/* issue first atomic writes */
v_add_f64 v[8:9], v[10:11], v[vgprValuC+12:vgprValuC+12+1] // desired value
_buffer_atomic_cmpswap_b64 v[8:11], v6, s[sgprSrdD:sgprSrdD+3] 0 offen offset:0 glc   // attempt write
s_waitcnt vmcnt(0)                                 // wait for atomic writes

/* check success of writes, update masks */
v_cmp_ne_u64 s[46:47], v[8:9], v[10:11]            // c read during atomic != c read during prior load

/* or masks to check for exit */
s_mov_b64 s[42:43], 0x0                            // empty mask
s_or_b64 s[42:43], s[46:47], s[42:43]              // or to add threads
s_or_saveexec_b64 s[44:45], s[42:43]               // apply combined mask
s_cbranch_execz label_0056                         // if exec is zero skip loop

/* atomic CAS loop */
label_0055:

/* apply updated masks and issue writes again */
s_mov_b64 exec, s[46:47]                           // must try again
v_mov_b32 v10, v8                                  // dataV+2 = tmp (new original C)
v_mov_b32 v11, v9                                  // dataV+3 = tmp (new original C)
v_add_f64 v[8:9], v[10:11], v[vgprValuC+12:vgprValuC+12+1] // newC = rC + originalC
_buffer_atomic_cmpswap_b64 v[8:11], v6, s[sgprSrdD:sgprSrdD+3] 0 offen offset:0 glc   // attempt write
s_waitcnt vmcnt(0)                                 // wait for atomic writes

/* apply masks and check for success */
s_mov_b64 exec, s[46:47]                           // must try again
v_cmp_ne_u64 s[42:43], v[8:9], v[10:11]            // c read during atomic != c read during prior load
s_and_b64 s[46:47], s[42:43], s[46:47]             // inBounds & must try again

/* or masks to check for exit */
s_mov_b64 s[42:43], 0x0                            // empty mask
s_or_b64 s[42:43], s[46:47], s[42:43]              // or to add threads
s_or_saveexec_b64 s[44:45], s[42:43]               // apply combined mask
s_cbranch_execnz label_0055                        // try again if not complete
label_0056:
s_mov_b64 exec, -1                                 // full mask -> exec
s_nop 0                                            // 1 wait state required when next inst writes vgprs held by previous dwordx4 store inst
/* optSingleColVgpr=0 optSharedColVgpr=0 optSGPRUsage=None optSrdIncForRow=0 */

/******************************************/
/* Global Write Alpha Batch #7 (d1,d0,vc1,vc0) = */
/*    (1,1,0,1:vw1:vaw:1)                 */
/******************************************/

/* calc coords, apply mask, and issue loads (if necessary) */
/* (d1,vc1,d0,vc0)=(1,0,1,1) */
s_mov_b32 s42, 65                                  // coordOffset0 d0=1 vc0=1
_v_add_co_u32 v4, vcc, v0, s42                     // coord0.2: coord0 += d0*sg0*VW + vc0
_v_add_lshl_u32 v6, v3, v4, 0x3                    // scaleToBpe: accumulate d0 lower and *= bpe into Cin addr
_buffer_load_b64 v[10:11], v6, s[sgprSrdD:sgprSrdD+3], 0, offen offset:0 // load D (atomic) bpm=8 vaw=1
v_accvgpr_read_b32 v[vgprValuC+12], acc26 // copy acc to vreg[14]
v_accvgpr_read_b32 v[vgprValuC+13], acc27 // copy acc to vreg[15]
s_nop 1                                            // 2 wait states required before reading vgpr

/* rC *= alpha batchElements=[(1, 1, 0, 1)] */
v_mul_f64 v[vgprValuC+12:vgprValuC+12+1], s[sgprAlpha:sgprAlpha+1], v[vgprValuC+12:vgprValuC+12+1] // *= alpha
s_waitcnt vmcnt(0)                                 // wait C (atomic)

/* issue first atomic writes */
v_add_f64 v[8:9], v[10:11], v[vgprValuC+12:vgprValuC+12+1] // desired value
_buffer_atomic_cmpswap_b64 v[8:11], v6, s[sgprSrdD:sgprSrdD+3] 0 offen offset:0 glc   // attempt write
s_waitcnt vmcnt(0)                                 // wait for atomic writes

/* check success of writes, update masks */
v_cmp_ne_u64 s[46:47], v[8:9], v[10:11]            // c read during atomic != c read during prior load

/* or masks to check for exit */
s_mov_b64 s[42:43], 0x0                            // empty mask
s_or_b64 s[42:43], s[46:47], s[42:43]              // or to add threads
s_or_saveexec_b64 s[44:45], s[42:43]               // apply combined mask
s_cbranch_execz label_0058                         // if exec is zero skip loop

/* atomic CAS loop */
label_0057:

/* apply updated masks and issue writes again */
s_mov_b64 exec, s[46:47]                           // must try again
v_mov_b32 v10, v8                                  // dataV+2 = tmp (new original C)
v_mov_b32 v11, v9                                  // dataV+3 = tmp (new original C)
v_add_f64 v[8:9], v[10:11], v[vgprValuC+12:vgprValuC+12+1] // newC = rC + originalC
_buffer_atomic_cmpswap_b64 v[8:11], v6, s[sgprSrdD:sgprSrdD+3] 0 offen offset:0 glc   // attempt write
s_waitcnt vmcnt(0)                                 // wait for atomic writes

/* apply masks and check for success */
s_mov_b64 exec, s[46:47]                           // must try again
v_cmp_ne_u64 s[42:43], v[8:9], v[10:11]            // c read during atomic != c read during prior load
s_and_b64 s[46:47], s[42:43], s[46:47]             // inBounds & must try again

/* or masks to check for exit */
s_mov_b64 s[42:43], 0x0                            // empty mask
s_or_b64 s[42:43], s[46:47], s[42:43]              // or to add threads
s_or_saveexec_b64 s[44:45], s[42:43]               // apply combined mask
s_cbranch_execnz label_0057                        // try again if not complete
label_0058:
s_mov_b64 exec, -1                                 // full mask -> exec
s_nop 0                                            // 1 wait state required when next inst writes vgprs held by previous dwordx4 store inst
/* optSingleColVgpr=0 optSharedColVgpr=0 optSGPRUsage=None optSrdIncForRow=0 */

/******************************************/
/* Global Write Alpha Batch #8 (d1,d0,vc1,vc0) = */
/*    (2,0,0,0:vw1:vaw:1)                 */
/******************************************/

/* calc coords, apply mask, and issue loads (if necessary) */
/* (d1,vc1,d0,vc0)=(2,0,0,0) */

/* Fix for UseInitialStridesCD, emitAddressSetupCode */
s_mul_i32 s42, s[sgprStrideC1J], 4                 // scale stride
_v_add_u32 v2, v2, s42                             // ROWINC- Move cinRowPtr to next row
s_mul_i32 s42, s[sgprStrideD1J], 4                 // scale stride
_v_add_u32 v3, v3, s42                             // Move coutRowPtr to next row
_v_add_lshl_u32 v6, v3, v0, 0x3                    // scaleToBpe: accumulate d0 lower and *= bpe into Cin addr
_buffer_load_b64 v[10:11], v6, s[sgprSrdD:sgprSrdD+3], 0, offen offset:0 // load D (atomic) bpm=8 vaw=1
v_accvgpr_read_b32 v[vgprValuC+12], acc4 // copy acc to vreg[16]
v_accvgpr_read_b32 v[vgprValuC+13], acc5 // copy acc to vreg[17]
s_nop 1                                            // 2 wait states required before reading vgpr

/* rC *= alpha batchElements=[(2, 0, 0, 0)] */
v_mul_f64 v[vgprValuC+12:vgprValuC+12+1], s[sgprAlpha:sgprAlpha+1], v[vgprValuC+12:vgprValuC+12+1] // *= alpha
s_waitcnt vmcnt(0)                                 // wait C (atomic)

/* issue first atomic writes */
v_add_f64 v[8:9], v[10:11], v[vgprValuC+12:vgprValuC+12+1] // desired value
_buffer_atomic_cmpswap_b64 v[8:11], v6, s[sgprSrdD:sgprSrdD+3] 0 offen offset:0 glc   // attempt write
s_waitcnt vmcnt(0)                                 // wait for atomic writes

/* check success of writes, update masks */
v_cmp_ne_u64 s[46:47], v[8:9], v[10:11]            // c read during atomic != c read during prior load

/* or masks to check for exit */
s_mov_b64 s[42:43], 0x0                            // empty mask
s_or_b64 s[42:43], s[46:47], s[42:43]              // or to add threads
s_or_saveexec_b64 s[44:45], s[42:43]               // apply combined mask
s_cbranch_execz label_0060                         // if exec is zero skip loop

/* atomic CAS loop */
label_0059:

/* apply updated masks and issue writes again */
s_mov_b64 exec, s[46:47]                           // must try again
v_mov_b32 v10, v8                                  // dataV+2 = tmp (new original C)
v_mov_b32 v11, v9                                  // dataV+3 = tmp (new original C)
v_add_f64 v[8:9], v[10:11], v[vgprValuC+12:vgprValuC+12+1] // newC = rC + originalC
_buffer_atomic_cmpswap_b64 v[8:11], v6, s[sgprSrdD:sgprSrdD+3] 0 offen offset:0 glc   // attempt write
s_waitcnt vmcnt(0)                                 // wait for atomic writes

/* apply masks and check for success */
s_mov_b64 exec, s[46:47]                           // must try again
v_cmp_ne_u64 s[42:43], v[8:9], v[10:11]            // c read during atomic != c read during prior load
s_and_b64 s[46:47], s[42:43], s[46:47]             // inBounds & must try again

/* or masks to check for exit */
s_mov_b64 s[42:43], 0x0                            // empty mask
s_or_b64 s[42:43], s[46:47], s[42:43]              // or to add threads
s_or_saveexec_b64 s[44:45], s[42:43]               // apply combined mask
s_cbranch_execnz label_0059                        // try again if not complete
label_0060:
s_mov_b64 exec, -1                                 // full mask -> exec
s_nop 0                                            // 1 wait state required when next inst writes vgprs held by previous dwordx4 store inst
/* optSingleColVgpr=0 optSharedColVgpr=0 optSGPRUsage=None optSrdIncForRow=0 */

/******************************************/
/* Global Write Alpha Batch #9 (d1,d0,vc1,vc0) = */
/*    (2,0,0,1:vw1:vaw:1)                 */
/******************************************/

/* calc coords, apply mask, and issue loads (if necessary) */
/* (d1,vc1,d0,vc0)=(2,0,0,1) */
_v_add_co_u32 v4, vcc, v0, 1                       // coord0.1: coord0 += d0*sg0*VW + vc0
_v_add_lshl_u32 v6, v3, v4, 0x3                    // scaleToBpe: accumulate d0 lower and *= bpe into Cin addr
_buffer_load_b64 v[10:11], v6, s[sgprSrdD:sgprSrdD+3], 0, offen offset:0 // load D (atomic) bpm=8 vaw=1
v_accvgpr_read_b32 v[vgprValuC+12], acc12 // copy acc to vreg[18]
v_accvgpr_read_b32 v[vgprValuC+13], acc13 // copy acc to vreg[19]
s_nop 1                                            // 2 wait states required before reading vgpr

/* rC *= alpha batchElements=[(2, 0, 0, 1)] */
v_mul_f64 v[vgprValuC+12:vgprValuC+12+1], s[sgprAlpha:sgprAlpha+1], v[vgprValuC+12:vgprValuC+12+1] // *= alpha
s_waitcnt vmcnt(0)                                 // wait C (atomic)

/* issue first atomic writes */
v_add_f64 v[8:9], v[10:11], v[vgprValuC+12:vgprValuC+12+1] // desired value
_buffer_atomic_cmpswap_b64 v[8:11], v6, s[sgprSrdD:sgprSrdD+3] 0 offen offset:0 glc   // attempt write
s_waitcnt vmcnt(0)                                 // wait for atomic writes

/* check success of writes, update masks */
v_cmp_ne_u64 s[46:47], v[8:9], v[10:11]            // c read during atomic != c read during prior load

/* or masks to check for exit */
s_mov_b64 s[42:43], 0x0                            // empty mask
s_or_b64 s[42:43], s[46:47], s[42:43]              // or to add threads
s_or_saveexec_b64 s[44:45], s[42:43]               // apply combined mask
s_cbranch_execz label_0062                         // if exec is zero skip loop

/* atomic CAS loop */
label_0061:

/* apply updated masks and issue writes again */
s_mov_b64 exec, s[46:47]                           // must try again
v_mov_b32 v10, v8                                  // dataV+2 = tmp (new original C)
v_mov_b32 v11, v9                                  // dataV+3 = tmp (new original C)
v_add_f64 v[8:9], v[10:11], v[vgprValuC+12:vgprValuC+12+1] // newC = rC + originalC
_buffer_atomic_cmpswap_b64 v[8:11], v6, s[sgprSrdD:sgprSrdD+3] 0 offen offset:0 glc   // attempt write
s_waitcnt vmcnt(0)                                 // wait for atomic writes

/* apply masks and check for success */
s_mov_b64 exec, s[46:47]                           // must try again
v_cmp_ne_u64 s[42:43], v[8:9], v[10:11]            // c read during atomic != c read during prior load
s_and_b64 s[46:47], s[42:43], s[46:47]             // inBounds & must try again

/* or masks to check for exit */
s_mov_b64 s[42:43], 0x0                            // empty mask
s_or_b64 s[42:43], s[46:47], s[42:43]              // or to add threads
s_or_saveexec_b64 s[44:45], s[42:43]               // apply combined mask
s_cbranch_execnz label_0061                        // try again if not complete
label_0062:
s_mov_b64 exec, -1                                 // full mask -> exec
s_nop 0                                            // 1 wait state required when next inst writes vgprs held by previous dwordx4 store inst
/* optSingleColVgpr=0 optSharedColVgpr=0 optSGPRUsage=None optSrdIncForRow=0 */

/******************************************/
/* Global Write Alpha Batch #10 (d1,d0,vc1,vc0) = */
/*    (2,1,0,0:vw1:vaw:1)                 */
/******************************************/

/* calc coords, apply mask, and issue loads (if necessary) */
/* (d1,vc1,d0,vc0)=(2,0,1,0) */
_v_add_co_u32 v4, vcc, v0, 64                      // coord0.1: coord0 += d0*sg0*VW + vc0
_v_add_lshl_u32 v6, v3, v4, 0x3                    // scaleToBpe: accumulate d0 lower and *= bpe into Cin addr
_buffer_load_b64 v[10:11], v6, s[sgprSrdD:sgprSrdD+3], 0, offen offset:0 // load D (atomic) bpm=8 vaw=1
v_accvgpr_read_b32 v[vgprValuC+12], acc20 // copy acc to vreg[20]
v_accvgpr_read_b32 v[vgprValuC+13], acc21 // copy acc to vreg[21]
s_nop 1                                            // 2 wait states required before reading vgpr

/* rC *= alpha batchElements=[(2, 1, 0, 0)] */
v_mul_f64 v[vgprValuC+12:vgprValuC+12+1], s[sgprAlpha:sgprAlpha+1], v[vgprValuC+12:vgprValuC+12+1] // *= alpha
s_waitcnt vmcnt(0)                                 // wait C (atomic)

/* issue first atomic writes */
v_add_f64 v[8:9], v[10:11], v[vgprValuC+12:vgprValuC+12+1] // desired value
_buffer_atomic_cmpswap_b64 v[8:11], v6, s[sgprSrdD:sgprSrdD+3] 0 offen offset:0 glc   // attempt write
s_waitcnt vmcnt(0)                                 // wait for atomic writes

/* check success of writes, update masks */
v_cmp_ne_u64 s[46:47], v[8:9], v[10:11]            // c read during atomic != c read during prior load

/* or masks to check for exit */
s_mov_b64 s[42:43], 0x0                            // empty mask
s_or_b64 s[42:43], s[46:47], s[42:43]              // or to add threads
s_or_saveexec_b64 s[44:45], s[42:43]               // apply combined mask
s_cbranch_execz label_0064                         // if exec is zero skip loop

/* atomic CAS loop */
label_0063:

/* apply updated masks and issue writes again */
s_mov_b64 exec, s[46:47]                           // must try again
v_mov_b32 v10, v8                                  // dataV+2 = tmp (new original C)
v_mov_b32 v11, v9                                  // dataV+3 = tmp (new original C)
v_add_f64 v[8:9], v[10:11], v[vgprValuC+12:vgprValuC+12+1] // newC = rC + originalC
_buffer_atomic_cmpswap_b64 v[8:11], v6, s[sgprSrdD:sgprSrdD+3] 0 offen offset:0 glc   // attempt write
s_waitcnt vmcnt(0)                                 // wait for atomic writes

/* apply masks and check for success */
s_mov_b64 exec, s[46:47]                           // must try again
v_cmp_ne_u64 s[42:43], v[8:9], v[10:11]            // c read during atomic != c read during prior load
s_and_b64 s[46:47], s[42:43], s[46:47]             // inBounds & must try again

/* or masks to check for exit */
s_mov_b64 s[42:43], 0x0                            // empty mask
s_or_b64 s[42:43], s[46:47], s[42:43]              // or to add threads
s_or_saveexec_b64 s[44:45], s[42:43]               // apply combined mask
s_cbranch_execnz label_0063                        // try again if not complete
label_0064:
s_mov_b64 exec, -1                                 // full mask -> exec
s_nop 0                                            // 1 wait state required when next inst writes vgprs held by previous dwordx4 store inst
/* optSingleColVgpr=0 optSharedColVgpr=0 optSGPRUsage=None optSrdIncForRow=0 */

/******************************************/
/* Global Write Alpha Batch #11 (d1,d0,vc1,vc0) = */
/*    (2,1,0,1:vw1:vaw:1)                 */
/******************************************/

/* calc coords, apply mask, and issue loads (if necessary) */
/* (d1,vc1,d0,vc0)=(2,0,1,1) */
s_mov_b32 s42, 65                                  // coordOffset0 d0=1 vc0=1
_v_add_co_u32 v4, vcc, v0, s42                     // coord0.2: coord0 += d0*sg0*VW + vc0
_v_add_lshl_u32 v6, v3, v4, 0x3                    // scaleToBpe: accumulate d0 lower and *= bpe into Cin addr
_buffer_load_b64 v[10:11], v6, s[sgprSrdD:sgprSrdD+3], 0, offen offset:0 // load D (atomic) bpm=8 vaw=1
v_accvgpr_read_b32 v[vgprValuC+12], acc28 // copy acc to vreg[22]
v_accvgpr_read_b32 v[vgprValuC+13], acc29 // copy acc to vreg[23]
s_nop 1                                            // 2 wait states required before reading vgpr

/* rC *= alpha batchElements=[(2, 1, 0, 1)] */
v_mul_f64 v[vgprValuC+12:vgprValuC+12+1], s[sgprAlpha:sgprAlpha+1], v[vgprValuC+12:vgprValuC+12+1] // *= alpha
s_waitcnt vmcnt(0)                                 // wait C (atomic)

/* issue first atomic writes */
v_add_f64 v[8:9], v[10:11], v[vgprValuC+12:vgprValuC+12+1] // desired value
_buffer_atomic_cmpswap_b64 v[8:11], v6, s[sgprSrdD:sgprSrdD+3] 0 offen offset:0 glc   // attempt write
s_waitcnt vmcnt(0)                                 // wait for atomic writes

/* check success of writes, update masks */
v_cmp_ne_u64 s[46:47], v[8:9], v[10:11]            // c read during atomic != c read during prior load

/* or masks to check for exit */
s_mov_b64 s[42:43], 0x0                            // empty mask
s_or_b64 s[42:43], s[46:47], s[42:43]              // or to add threads
s_or_saveexec_b64 s[44:45], s[42:43]               // apply combined mask
s_cbranch_execz label_0066                         // if exec is zero skip loop

/* atomic CAS loop */
label_0065:

/* apply updated masks and issue writes again */
s_mov_b64 exec, s[46:47]                           // must try again
v_mov_b32 v10, v8                                  // dataV+2 = tmp (new original C)
v_mov_b32 v11, v9                                  // dataV+3 = tmp (new original C)
v_add_f64 v[8:9], v[10:11], v[vgprValuC+12:vgprValuC+12+1] // newC = rC + originalC
_buffer_atomic_cmpswap_b64 v[8:11], v6, s[sgprSrdD:sgprSrdD+3] 0 offen offset:0 glc   // attempt write
s_waitcnt vmcnt(0)                                 // wait for atomic writes

/* apply masks and check for success */
s_mov_b64 exec, s[46:47]                           // must try again
v_cmp_ne_u64 s[42:43], v[8:9], v[10:11]            // c read during atomic != c read during prior load
s_and_b64 s[46:47], s[42:43], s[46:47]             // inBounds & must try again

/* or masks to check for exit */
s_mov_b64 s[42:43], 0x0                            // empty mask
s_or_b64 s[42:43], s[46:47], s[42:43]              // or to add threads
s_or_saveexec_b64 s[44:45], s[42:43]               // apply combined mask
s_cbranch_execnz label_0065                        // try again if not complete
label_0066:
s_mov_b64 exec, -1                                 // full mask -> exec
s_nop 0                                            // 1 wait state required when next inst writes vgprs held by previous dwordx4 store inst
/* optSingleColVgpr=0 optSharedColVgpr=0 optSGPRUsage=None optSrdIncForRow=0 */

/******************************************/
/* Global Write Alpha Batch #12 (d1,d0,vc1,vc0) = */
/*    (3,0,0,0:vw1:vaw:1)                 */
/******************************************/

/* calc coords, apply mask, and issue loads (if necessary) */
/* (d1,vc1,d0,vc0)=(3,0,0,0) */

/* Fix for UseInitialStridesCD, emitAddressSetupCode */
s_mul_i32 s42, s[sgprStrideC1J], 4                 // scale stride
_v_add_u32 v2, v2, s42                             // ROWINC- Move cinRowPtr to next row
s_mul_i32 s42, s[sgprStrideD1J], 4                 // scale stride
_v_add_u32 v3, v3, s42                             // Move coutRowPtr to next row
_v_add_lshl_u32 v6, v3, v0, 0x3                    // scaleToBpe: accumulate d0 lower and *= bpe into Cin addr
_buffer_load_b64 v[10:11], v6, s[sgprSrdD:sgprSrdD+3], 0, offen offset:0 // load D (atomic) bpm=8 vaw=1
v_accvgpr_read_b32 v[vgprValuC+12], acc6 // copy acc to vreg[24]
v_accvgpr_read_b32 v[vgprValuC+13], acc7 // copy acc to vreg[25]
s_nop 1                                            // 2 wait states required before reading vgpr

/* rC *= alpha batchElements=[(3, 0, 0, 0)] */
v_mul_f64 v[vgprValuC+12:vgprValuC+12+1], s[sgprAlpha:sgprAlpha+1], v[vgprValuC+12:vgprValuC+12+1] // *= alpha
s_waitcnt vmcnt(0)                                 // wait C (atomic)

/* issue first atomic writes */
v_add_f64 v[8:9], v[10:11], v[vgprValuC+12:vgprValuC+12+1] // desired value
_buffer_atomic_cmpswap_b64 v[8:11], v6, s[sgprSrdD:sgprSrdD+3] 0 offen offset:0 glc   // attempt write
s_waitcnt vmcnt(0)                                 // wait for atomic writes

/* check success of writes, update masks */
v_cmp_ne_u64 s[46:47], v[8:9], v[10:11]            // c read during atomic != c read during prior load

/* or masks to check for exit */
s_mov_b64 s[42:43], 0x0                            // empty mask
s_or_b64 s[42:43], s[46:47], s[42:43]              // or to add threads
s_or_saveexec_b64 s[44:45], s[42:43]               // apply combined mask
s_cbranch_execz label_0068                         // if exec is zero skip loop

/* atomic CAS loop */
label_0067:

/* apply updated masks and issue writes again */
s_mov_b64 exec, s[46:47]                           // must try again
v_mov_b32 v10, v8                                  // dataV+2 = tmp (new original C)
v_mov_b32 v11, v9                                  // dataV+3 = tmp (new original C)
v_add_f64 v[8:9], v[10:11], v[vgprValuC+12:vgprValuC+12+1] // newC = rC + originalC
_buffer_atomic_cmpswap_b64 v[8:11], v6, s[sgprSrdD:sgprSrdD+3] 0 offen offset:0 glc   // attempt write
s_waitcnt vmcnt(0)                                 // wait for atomic writes

/* apply masks and check for success */
s_mov_b64 exec, s[46:47]                           // must try again
v_cmp_ne_u64 s[42:43], v[8:9], v[10:11]            // c read during atomic != c read during prior load
s_and_b64 s[46:47], s[42:43], s[46:47]             // inBounds & must try again

/* or masks to check for exit */
s_mov_b64 s[42:43], 0x0                            // empty mask
s_or_b64 s[42:43], s[46:47], s[42:43]              // or to add threads
s_or_saveexec_b64 s[44:45], s[42:43]               // apply combined mask
s_cbranch_execnz label_0067                        // try again if not complete
label_0068:
s_mov_b64 exec, -1                                 // full mask -> exec
s_nop 0                                            // 1 wait state required when next inst writes vgprs held by previous dwordx4 store inst
/* optSingleColVgpr=0 optSharedColVgpr=0 optSGPRUsage=None optSrdIncForRow=0 */

/******************************************/
/* Global Write Alpha Batch #13 (d1,d0,vc1,vc0) = */
/*    (3,0,0,1:vw1:vaw:1)                 */
/******************************************/

/* calc coords, apply mask, and issue loads (if necessary) */
/* (d1,vc1,d0,vc0)=(3,0,0,1) */
_v_add_co_u32 v4, vcc, v0, 1                       // coord0.1: coord0 += d0*sg0*VW + vc0
_v_add_lshl_u32 v6, v3, v4, 0x3                    // scaleToBpe: accumulate d0 lower and *= bpe into Cin addr
_buffer_load_b64 v[10:11], v6, s[sgprSrdD:sgprSrdD+3], 0, offen offset:0 // load D (atomic) bpm=8 vaw=1
v_accvgpr_read_b32 v[vgprValuC+12], acc14 // copy acc to vreg[26]
v_accvgpr_read_b32 v[vgprValuC+13], acc15 // copy acc to vreg[27]
s_nop 1                                            // 2 wait states required before reading vgpr

/* rC *= alpha batchElements=[(3, 0, 0, 1)] */
v_mul_f64 v[vgprValuC+12:vgprValuC+12+1], s[sgprAlpha:sgprAlpha+1], v[vgprValuC+12:vgprValuC+12+1] // *= alpha
s_waitcnt vmcnt(0)                                 // wait C (atomic)

/* issue first atomic writes */
v_add_f64 v[8:9], v[10:11], v[vgprValuC+12:vgprValuC+12+1] // desired value
_buffer_atomic_cmpswap_b64 v[8:11], v6, s[sgprSrdD:sgprSrdD+3] 0 offen offset:0 glc   // attempt write
s_waitcnt vmcnt(0)                                 // wait for atomic writes

/* check success of writes, update masks */
v_cmp_ne_u64 s[46:47], v[8:9], v[10:11]            // c read during atomic != c read during prior load

/* or masks to check for exit */
s_mov_b64 s[42:43], 0x0                            // empty mask
s_or_b64 s[42:43], s[46:47], s[42:43]              // or to add threads
s_or_saveexec_b64 s[44:45], s[42:43]               // apply combined mask
s_cbranch_execz label_0070                         // if exec is zero skip loop

/* atomic CAS loop */
label_0069:

/* apply updated masks and issue writes again */
s_mov_b64 exec, s[46:47]                           // must try again
v_mov_b32 v10, v8                                  // dataV+2 = tmp (new original C)
v_mov_b32 v11, v9                                  // dataV+3 = tmp (new original C)
v_add_f64 v[8:9], v[10:11], v[vgprValuC+12:vgprValuC+12+1] // newC = rC + originalC
_buffer_atomic_cmpswap_b64 v[8:11], v6, s[sgprSrdD:sgprSrdD+3] 0 offen offset:0 glc   // attempt write
s_waitcnt vmcnt(0)                                 // wait for atomic writes

/* apply masks and check for success */
s_mov_b64 exec, s[46:47]                           // must try again
v_cmp_ne_u64 s[42:43], v[8:9], v[10:11]            // c read during atomic != c read during prior load
s_and_b64 s[46:47], s[42:43], s[46:47]             // inBounds & must try again

/* or masks to check for exit */
s_mov_b64 s[42:43], 0x0                            // empty mask
s_or_b64 s[42:43], s[46:47], s[42:43]              // or to add threads
s_or_saveexec_b64 s[44:45], s[42:43]               // apply combined mask
s_cbranch_execnz label_0069                        // try again if not complete
label_0070:
s_mov_b64 exec, -1                                 // full mask -> exec
s_nop 0                                            // 1 wait state required when next inst writes vgprs held by previous dwordx4 store inst
/* optSingleColVgpr=0 optSharedColVgpr=0 optSGPRUsage=None optSrdIncForRow=0 */

/******************************************/
/* Global Write Alpha Batch #14 (d1,d0,vc1,vc0) = */
/*    (3,1,0,0:vw1:vaw:1)                 */
/******************************************/

/* calc coords, apply mask, and issue loads (if necessary) */
/* (d1,vc1,d0,vc0)=(3,0,1,0) */
_v_add_co_u32 v4, vcc, v0, 64                      // coord0.1: coord0 += d0*sg0*VW + vc0
_v_add_lshl_u32 v6, v3, v4, 0x3                    // scaleToBpe: accumulate d0 lower and *= bpe into Cin addr
_buffer_load_b64 v[10:11], v6, s[sgprSrdD:sgprSrdD+3], 0, offen offset:0 // load D (atomic) bpm=8 vaw=1
v_accvgpr_read_b32 v[vgprValuC+12], acc22 // copy acc to vreg[28]
v_accvgpr_read_b32 v[vgprValuC+13], acc23 // copy acc to vreg[29]
s_nop 1                                            // 2 wait states required before reading vgpr

/* rC *= alpha batchElements=[(3, 1, 0, 0)] */
v_mul_f64 v[vgprValuC+12:vgprValuC+12+1], s[sgprAlpha:sgprAlpha+1], v[vgprValuC+12:vgprValuC+12+1] // *= alpha
s_waitcnt vmcnt(0)                                 // wait C (atomic)

/* issue first atomic writes */
v_add_f64 v[8:9], v[10:11], v[vgprValuC+12:vgprValuC+12+1] // desired value
_buffer_atomic_cmpswap_b64 v[8:11], v6, s[sgprSrdD:sgprSrdD+3] 0 offen offset:0 glc   // attempt write
s_waitcnt vmcnt(0)                                 // wait for atomic writes

/* check success of writes, update masks */
v_cmp_ne_u64 s[46:47], v[8:9], v[10:11]            // c read during atomic != c read during prior load

/* or masks to check for exit */
s_mov_b64 s[42:43], 0x0                            // empty mask
s_or_b64 s[42:43], s[46:47], s[42:43]              // or to add threads
s_or_saveexec_b64 s[44:45], s[42:43]               // apply combined mask
s_cbranch_execz label_0072                         // if exec is zero skip loop

/* atomic CAS loop */
label_0071:

/* apply updated masks and issue writes again */
s_mov_b64 exec, s[46:47]                           // must try again
v_mov_b32 v10, v8                                  // dataV+2 = tmp (new original C)
v_mov_b32 v11, v9                                  // dataV+3 = tmp (new original C)
v_add_f64 v[8:9], v[10:11], v[vgprValuC+12:vgprValuC+12+1] // newC = rC + originalC
_buffer_atomic_cmpswap_b64 v[8:11], v6, s[sgprSrdD:sgprSrdD+3] 0 offen offset:0 glc   // attempt write
s_waitcnt vmcnt(0)                                 // wait for atomic writes

/* apply masks and check for success */
s_mov_b64 exec, s[46:47]                           // must try again
v_cmp_ne_u64 s[42:43], v[8:9], v[10:11]            // c read during atomic != c read during prior load
s_and_b64 s[46:47], s[42:43], s[46:47]             // inBounds & must try again

/* or masks to check for exit */
s_mov_b64 s[42:43], 0x0                            // empty mask
s_or_b64 s[42:43], s[46:47], s[42:43]              // or to add threads
s_or_saveexec_b64 s[44:45], s[42:43]               // apply combined mask
s_cbranch_execnz label_0071                        // try again if not complete
label_0072:
s_mov_b64 exec, -1                                 // full mask -> exec
s_nop 0                                            // 1 wait state required when next inst writes vgprs held by previous dwordx4 store inst
/* optSingleColVgpr=0 optSharedColVgpr=0 optSGPRUsage=None optSrdIncForRow=0 */

/******************************************/
/* Global Write Alpha Batch #15 (d1,d0,vc1,vc0) = */
/*    (3,1,0,1:vw1:vaw:1)                 */
/******************************************/

/* calc coords, apply mask, and issue loads (if necessary) */
/* (d1,vc1,d0,vc0)=(3,0,1,1) */
s_mov_b32 s42, 65                                  // coordOffset0 d0=1 vc0=1
_v_add_co_u32 v4, vcc, v0, s42                     // coord0.2: coord0 += d0*sg0*VW + vc0
_v_add_lshl_u32 v6, v3, v4, 0x3                    // scaleToBpe: accumulate d0 lower and *= bpe into Cin addr
_buffer_load_b64 v[10:11], v6, s[sgprSrdD:sgprSrdD+3], 0, offen offset:0 // load D (atomic) bpm=8 vaw=1
v_accvgpr_read_b32 v[vgprValuC+12], acc30 // copy acc to vreg[30]
v_accvgpr_read_b32 v[vgprValuC+13], acc31 // copy acc to vreg[31]
s_nop 1                                            // 2 wait states required before reading vgpr

/* rC *= alpha batchElements=[(3, 1, 0, 1)] */
v_mul_f64 v[vgprValuC+12:vgprValuC+12+1], s[sgprAlpha:sgprAlpha+1], v[vgprValuC+12:vgprValuC+12+1] // *= alpha
s_waitcnt vmcnt(0)                                 // wait C (atomic)

/* issue first atomic writes */
v_add_f64 v[8:9], v[10:11], v[vgprValuC+12:vgprValuC+12+1] // desired value
_buffer_atomic_cmpswap_b64 v[8:11], v6, s[sgprSrdD:sgprSrdD+3] 0 offen offset:0 glc   // attempt write
s_waitcnt vmcnt(0)                                 // wait for atomic writes

/* check success of writes, update masks */
v_cmp_ne_u64 s[46:47], v[8:9], v[10:11]            // c read during atomic != c read during prior load

/* or masks to check for exit */
s_mov_b64 s[42:43], 0x0                            // empty mask
s_or_b64 s[42:43], s[46:47], s[42:43]              // or to add threads
s_or_saveexec_b64 s[44:45], s[42:43]               // apply combined mask
s_cbranch_execz label_0074                         // if exec is zero skip loop

/* atomic CAS loop */
label_0073:

/* apply updated masks and issue writes again */
s_mov_b64 exec, s[46:47]                           // must try again
v_mov_b32 v10, v8                                  // dataV+2 = tmp (new original C)
v_mov_b32 v11, v9                                  // dataV+3 = tmp (new original C)
v_add_f64 v[8:9], v[10:11], v[vgprValuC+12:vgprValuC+12+1] // newC = rC + originalC
_buffer_atomic_cmpswap_b64 v[8:11], v6, s[sgprSrdD:sgprSrdD+3] 0 offen offset:0 glc   // attempt write
s_waitcnt vmcnt(0)                                 // wait for atomic writes

/* apply masks and check for success */
s_mov_b64 exec, s[46:47]                           // must try again
v_cmp_ne_u64 s[42:43], v[8:9], v[10:11]            // c read during atomic != c read during prior load
s_and_b64 s[46:47], s[42:43], s[46:47]             // inBounds & must try again

/* or masks to check for exit */
s_mov_b64 s[42:43], 0x0                            // empty mask
s_or_b64 s[42:43], s[46:47], s[42:43]              // or to add threads
s_or_saveexec_b64 s[44:45], s[42:43]               // apply combined mask
s_cbranch_execnz label_0073                        // try again if not complete
label_0074:
s_mov_b64 exec, -1                                 // full mask -> exec
s_nop 0                                            // 1 wait state required when next inst writes vgprs held by previous dwordx4 store inst
/* optSingleColVgpr=0 optSharedColVgpr=0 optSGPRUsage=None optSrdIncForRow=0 */

/******************************************/
/* Global Write Alpha Batch #16 (d1,d0,vc1,vc0) = */
/*    (4,0,0,0:vw1:vaw:1)                 */
/******************************************/

/* calc coords, apply mask, and issue loads (if necessary) */
/* (d1,vc1,d0,vc0)=(4,0,0,0) */

/* Fix for UseInitialStridesCD, emitAddressSetupCode */
s_mul_i32 s42, s[sgprStrideC1J], 20                // scale stride
_v_add_u32 v2, v2, s42                             // ROWINC- Move cinRowPtr to next row
s_mul_i32 s42, s[sgprStrideD1J], 20                // scale stride
_v_add_u32 v3, v3, s42                             // Move coutRowPtr to next row
_v_add_lshl_u32 v6, v3, v0, 0x3                    // scaleToBpe: accumulate d0 lower and *= bpe into Cin addr
_buffer_load_b64 v[10:11], v6, s[sgprSrdD:sgprSrdD+3], 0, offen offset:0 // load D (atomic) bpm=8 vaw=1
v_accvgpr_read_b32 v[vgprValuC+12], acc32 // copy acc to vreg[32]
v_accvgpr_read_b32 v[vgprValuC+13], acc33 // copy acc to vreg[33]
s_nop 1                                            // 2 wait states required before reading vgpr

/* rC *= alpha batchElements=[(4, 0, 0, 0)] */
v_mul_f64 v[vgprValuC+12:vgprValuC+12+1], s[sgprAlpha:sgprAlpha+1], v[vgprValuC+12:vgprValuC+12+1] // *= alpha
s_waitcnt vmcnt(0)                                 // wait C (atomic)

/* issue first atomic writes */
v_add_f64 v[8:9], v[10:11], v[vgprValuC+12:vgprValuC+12+1] // desired value
_buffer_atomic_cmpswap_b64 v[8:11], v6, s[sgprSrdD:sgprSrdD+3] 0 offen offset:0 glc   // attempt write
s_waitcnt vmcnt(0)                                 // wait for atomic writes

/* check success of writes, update masks */
v_cmp_ne_u64 s[46:47], v[8:9], v[10:11]            // c read during atomic != c read during prior load

/* or masks to check for exit */
s_mov_b64 s[42:43], 0x0                            // empty mask
s_or_b64 s[42:43], s[46:47], s[42:43]              // or to add threads
s_or_saveexec_b64 s[44:45], s[42:43]               // apply combined mask
s_cbranch_execz label_0076                         // if exec is zero skip loop

/* atomic CAS loop */
label_0075:

/* apply updated masks and issue writes again */
s_mov_b64 exec, s[46:47]                           // must try again
v_mov_b32 v10, v8                                  // dataV+2 = tmp (new original C)
v_mov_b32 v11, v9                                  // dataV+3 = tmp (new original C)
v_add_f64 v[8:9], v[10:11], v[vgprValuC+12:vgprValuC+12+1] // newC = rC + originalC
_buffer_atomic_cmpswap_b64 v[8:11], v6, s[sgprSrdD:sgprSrdD+3] 0 offen offset:0 glc   // attempt write
s_waitcnt vmcnt(0)                                 // wait for atomic writes

/* apply masks and check for success */
s_mov_b64 exec, s[46:47]                           // must try again
v_cmp_ne_u64 s[42:43], v[8:9], v[10:11]            // c read during atomic != c read during prior load
s_and_b64 s[46:47], s[42:43], s[46:47]             // inBounds & must try again

/* or masks to check for exit */
s_mov_b64 s[42:43], 0x0                            // empty mask
s_or_b64 s[42:43], s[46:47], s[42:43]              // or to add threads
s_or_saveexec_b64 s[44:45], s[42:43]               // apply combined mask
s_cbranch_execnz label_0075                        // try again if not complete
label_0076:
s_mov_b64 exec, -1                                 // full mask -> exec
s_nop 0                                            // 1 wait state required when next inst writes vgprs held by previous dwordx4 store inst
/* optSingleColVgpr=0 optSharedColVgpr=0 optSGPRUsage=None optSrdIncForRow=0 */

/******************************************/
/* Global Write Alpha Batch #17 (d1,d0,vc1,vc0) = */
/*    (4,0,0,1:vw1:vaw:1)                 */
/******************************************/

/* calc coords, apply mask, and issue loads (if necessary) */
/* (d1,vc1,d0,vc0)=(4,0,0,1) */
_v_add_co_u32 v4, vcc, v0, 1                       // coord0.1: coord0 += d0*sg0*VW + vc0
_v_add_lshl_u32 v6, v3, v4, 0x3                    // scaleToBpe: accumulate d0 lower and *= bpe into Cin addr
_buffer_load_b64 v[10:11], v6, s[sgprSrdD:sgprSrdD+3], 0, offen offset:0 // load D (atomic) bpm=8 vaw=1
v_accvgpr_read_b32 v[vgprValuC+12], acc40 // copy acc to vreg[34]
v_accvgpr_read_b32 v[vgprValuC+13], acc41 // copy acc to vreg[35]
s_nop 1                                            // 2 wait states required before reading vgpr

/* rC *= alpha batchElements=[(4, 0, 0, 1)] */
v_mul_f64 v[vgprValuC+12:vgprValuC+12+1], s[sgprAlpha:sgprAlpha+1], v[vgprValuC+12:vgprValuC+12+1] // *= alpha
s_waitcnt vmcnt(0)                                 // wait C (atomic)

/* issue first atomic writes */
v_add_f64 v[8:9], v[10:11], v[vgprValuC+12:vgprValuC+12+1] // desired value
_buffer_atomic_cmpswap_b64 v[8:11], v6, s[sgprSrdD:sgprSrdD+3] 0 offen offset:0 glc   // attempt write
s_waitcnt vmcnt(0)                                 // wait for atomic writes

/* check success of writes, update masks */
v_cmp_ne_u64 s[46:47], v[8:9], v[10:11]            // c read during atomic != c read during prior load

/* or masks to check for exit */
s_mov_b64 s[42:43], 0x0                            // empty mask
s_or_b64 s[42:43], s[46:47], s[42:43]              // or to add threads
s_or_saveexec_b64 s[44:45], s[42:43]               // apply combined mask
s_cbranch_execz label_0078                         // if exec is zero skip loop

/* atomic CAS loop */
label_0077:

/* apply updated masks and issue writes again */
s_mov_b64 exec, s[46:47]                           // must try again
v_mov_b32 v10, v8                                  // dataV+2 = tmp (new original C)
v_mov_b32 v11, v9                                  // dataV+3 = tmp (new original C)
v_add_f64 v[8:9], v[10:11], v[vgprValuC+12:vgprValuC+12+1] // newC = rC + originalC
_buffer_atomic_cmpswap_b64 v[8:11], v6, s[sgprSrdD:sgprSrdD+3] 0 offen offset:0 glc   // attempt write
s_waitcnt vmcnt(0)                                 // wait for atomic writes

/* apply masks and check for success */
s_mov_b64 exec, s[46:47]                           // must try again
v_cmp_ne_u64 s[42:43], v[8:9], v[10:11]            // c read during atomic != c read during prior load
s_and_b64 s[46:47], s[42:43], s[46:47]             // inBounds & must try again

/* or masks to check for exit */
s_mov_b64 s[42:43], 0x0                            // empty mask
s_or_b64 s[42:43], s[46:47], s[42:43]              // or to add threads
s_or_saveexec_b64 s[44:45], s[42:43]               // apply combined mask
s_cbranch_execnz label_0077                        // try again if not complete
label_0078:
s_mov_b64 exec, -1                                 // full mask -> exec
s_nop 0                                            // 1 wait state required when next inst writes vgprs held by previous dwordx4 store inst
/* optSingleColVgpr=0 optSharedColVgpr=0 optSGPRUsage=None optSrdIncForRow=0 */

/******************************************/
/* Global Write Alpha Batch #18 (d1,d0,vc1,vc0) = */
/*    (4,1,0,0:vw1:vaw:1)                 */
/******************************************/

/* calc coords, apply mask, and issue loads (if necessary) */
/* (d1,vc1,d0,vc0)=(4,0,1,0) */
_v_add_co_u32 v4, vcc, v0, 64                      // coord0.1: coord0 += d0*sg0*VW + vc0
_v_add_lshl_u32 v6, v3, v4, 0x3                    // scaleToBpe: accumulate d0 lower and *= bpe into Cin addr
_buffer_load_b64 v[10:11], v6, s[sgprSrdD:sgprSrdD+3], 0, offen offset:0 // load D (atomic) bpm=8 vaw=1
v_accvgpr_read_b32 v[vgprValuC+12], acc48 // copy acc to vreg[36]
v_accvgpr_read_b32 v[vgprValuC+13], acc49 // copy acc to vreg[37]
s_nop 1                                            // 2 wait states required before reading vgpr

/* rC *= alpha batchElements=[(4, 1, 0, 0)] */
v_mul_f64 v[vgprValuC+12:vgprValuC+12+1], s[sgprAlpha:sgprAlpha+1], v[vgprValuC+12:vgprValuC+12+1] // *= alpha
s_waitcnt vmcnt(0)                                 // wait C (atomic)

/* issue first atomic writes */
v_add_f64 v[8:9], v[10:11], v[vgprValuC+12:vgprValuC+12+1] // desired value
_buffer_atomic_cmpswap_b64 v[8:11], v6, s[sgprSrdD:sgprSrdD+3] 0 offen offset:0 glc   // attempt write
s_waitcnt vmcnt(0)                                 // wait for atomic writes

/* check success of writes, update masks */
v_cmp_ne_u64 s[46:47], v[8:9], v[10:11]            // c read during atomic != c read during prior load

/* or masks to check for exit */
s_mov_b64 s[42:43], 0x0                            // empty mask
s_or_b64 s[42:43], s[46:47], s[42:43]              // or to add threads
s_or_saveexec_b64 s[44:45], s[42:43]               // apply combined mask
s_cbranch_execz label_0080                         // if exec is zero skip loop

/* atomic CAS loop */
label_0079:

/* apply updated masks and issue writes again */
s_mov_b64 exec, s[46:47]                           // must try again
v_mov_b32 v10, v8                                  // dataV+2 = tmp (new original C)
v_mov_b32 v11, v9                                  // dataV+3 = tmp (new original C)
v_add_f64 v[8:9], v[10:11], v[vgprValuC+12:vgprValuC+12+1] // newC = rC + originalC
_buffer_atomic_cmpswap_b64 v[8:11], v6, s[sgprSrdD:sgprSrdD+3] 0 offen offset:0 glc   // attempt write
s_waitcnt vmcnt(0)                                 // wait for atomic writes

/* apply masks and check for success */
s_mov_b64 exec, s[46:47]                           // must try again
v_cmp_ne_u64 s[42:43], v[8:9], v[10:11]            // c read during atomic != c read during prior load
s_and_b64 s[46:47], s[42:43], s[46:47]             // inBounds & must try again

/* or masks to check for exit */
s_mov_b64 s[42:43], 0x0                            // empty mask
s_or_b64 s[42:43], s[46:47], s[42:43]              // or to add threads
s_or_saveexec_b64 s[44:45], s[42:43]               // apply combined mask
s_cbranch_execnz label_0079                        // try again if not complete
label_0080:
s_mov_b64 exec, -1                                 // full mask -> exec
s_nop 0                                            // 1 wait state required when next inst writes vgprs held by previous dwordx4 store inst
/* optSingleColVgpr=0 optSharedColVgpr=0 optSGPRUsage=None optSrdIncForRow=0 */

/******************************************/
/* Global Write Alpha Batch #19 (d1,d0,vc1,vc0) = */
/*    (4,1,0,1:vw1:vaw:1)                 */
/******************************************/

/* calc coords, apply mask, and issue loads (if necessary) */
/* (d1,vc1,d0,vc0)=(4,0,1,1) */
s_mov_b32 s42, 65                                  // coordOffset0 d0=1 vc0=1
_v_add_co_u32 v4, vcc, v0, s42                     // coord0.2: coord0 += d0*sg0*VW + vc0
_v_add_lshl_u32 v6, v3, v4, 0x3                    // scaleToBpe: accumulate d0 lower and *= bpe into Cin addr
_buffer_load_b64 v[10:11], v6, s[sgprSrdD:sgprSrdD+3], 0, offen offset:0 // load D (atomic) bpm=8 vaw=1
v_accvgpr_read_b32 v[vgprValuC+12], acc56 // copy acc to vreg[38]
v_accvgpr_read_b32 v[vgprValuC+13], acc57 // copy acc to vreg[39]
s_nop 1                                            // 2 wait states required before reading vgpr

/* rC *= alpha batchElements=[(4, 1, 0, 1)] */
v_mul_f64 v[vgprValuC+12:vgprValuC+12+1], s[sgprAlpha:sgprAlpha+1], v[vgprValuC+12:vgprValuC+12+1] // *= alpha
s_waitcnt vmcnt(0)                                 // wait C (atomic)

/* issue first atomic writes */
v_add_f64 v[8:9], v[10:11], v[vgprValuC+12:vgprValuC+12+1] // desired value
_buffer_atomic_cmpswap_b64 v[8:11], v6, s[sgprSrdD:sgprSrdD+3] 0 offen offset:0 glc   // attempt write
s_waitcnt vmcnt(0)                                 // wait for atomic writes

/* check success of writes, update masks */
v_cmp_ne_u64 s[46:47], v[8:9], v[10:11]            // c read during atomic != c read during prior load

/* or masks to check for exit */
s_mov_b64 s[42:43], 0x0                            // empty mask
s_or_b64 s[42:43], s[46:47], s[42:43]              // or to add threads
s_or_saveexec_b64 s[44:45], s[42:43]               // apply combined mask
s_cbranch_execz label_0082                         // if exec is zero skip loop

/* atomic CAS loop */
label_0081:

/* apply updated masks and issue writes again */
s_mov_b64 exec, s[46:47]                           // must try again
v_mov_b32 v10, v8                                  // dataV+2 = tmp (new original C)
v_mov_b32 v11, v9                                  // dataV+3 = tmp (new original C)
v_add_f64 v[8:9], v[10:11], v[vgprValuC+12:vgprValuC+12+1] // newC = rC + originalC
_buffer_atomic_cmpswap_b64 v[8:11], v6, s[sgprSrdD:sgprSrdD+3] 0 offen offset:0 glc   // attempt write
s_waitcnt vmcnt(0)                                 // wait for atomic writes

/* apply masks and check for success */
s_mov_b64 exec, s[46:47]                           // must try again
v_cmp_ne_u64 s[42:43], v[8:9], v[10:11]            // c read during atomic != c read during prior load
s_and_b64 s[46:47], s[42:43], s[46:47]             // inBounds & must try again

/* or masks to check for exit */
s_mov_b64 s[42:43], 0x0                            // empty mask
s_or_b64 s[42:43], s[46:47], s[42:43]              // or to add threads
s_or_saveexec_b64 s[44:45], s[42:43]               // apply combined mask
s_cbranch_execnz label_0081                        // try again if not complete
label_0082:
s_mov_b64 exec, -1                                 // full mask -> exec
s_nop 0                                            // 1 wait state required when next inst writes vgprs held by previous dwordx4 store inst
/* optSingleColVgpr=0 optSharedColVgpr=0 optSGPRUsage=None optSrdIncForRow=0 */

/******************************************/
/* Global Write Alpha Batch #20 (d1,d0,vc1,vc0) = */
/*    (5,0,0,0:vw1:vaw:1)                 */
/******************************************/

/* calc coords, apply mask, and issue loads (if necessary) */
/* (d1,vc1,d0,vc0)=(5,0,0,0) */

/* Fix for UseInitialStridesCD, emitAddressSetupCode */
s_mul_i32 s42, s[sgprStrideC1J], 4                 // scale stride
_v_add_u32 v2, v2, s42                             // ROWINC- Move cinRowPtr to next row
s_mul_i32 s42, s[sgprStrideD1J], 4                 // scale stride
_v_add_u32 v3, v3, s42                             // Move coutRowPtr to next row
_v_add_lshl_u32 v6, v3, v0, 0x3                    // scaleToBpe: accumulate d0 lower and *= bpe into Cin addr
_buffer_load_b64 v[10:11], v6, s[sgprSrdD:sgprSrdD+3], 0, offen offset:0 // load D (atomic) bpm=8 vaw=1
v_accvgpr_read_b32 v[vgprValuC+12], acc34 // copy acc to vreg[40]
v_accvgpr_read_b32 v[vgprValuC+13], acc35 // copy acc to vreg[41]
s_nop 1                                            // 2 wait states required before reading vgpr

/* rC *= alpha batchElements=[(5, 0, 0, 0)] */
v_mul_f64 v[vgprValuC+12:vgprValuC+12+1], s[sgprAlpha:sgprAlpha+1], v[vgprValuC+12:vgprValuC+12+1] // *= alpha
s_waitcnt vmcnt(0)                                 // wait C (atomic)

/* issue first atomic writes */
v_add_f64 v[8:9], v[10:11], v[vgprValuC+12:vgprValuC+12+1] // desired value
_buffer_atomic_cmpswap_b64 v[8:11], v6, s[sgprSrdD:sgprSrdD+3] 0 offen offset:0 glc   // attempt write
s_waitcnt vmcnt(0)                                 // wait for atomic writes

/* check success of writes, update masks */
v_cmp_ne_u64 s[46:47], v[8:9], v[10:11]            // c read during atomic != c read during prior load

/* or masks to check for exit */
s_mov_b64 s[42:43], 0x0                            // empty mask
s_or_b64 s[42:43], s[46:47], s[42:43]              // or to add threads
s_or_saveexec_b64 s[44:45], s[42:43]               // apply combined mask
s_cbranch_execz label_0084                         // if exec is zero skip loop

/* atomic CAS loop */
label_0083:

/* apply updated masks and issue writes again */
s_mov_b64 exec, s[46:47]                           // must try again
v_mov_b32 v10, v8                                  // dataV+2 = tmp (new original C)
v_mov_b32 v11, v9                                  // dataV+3 = tmp (new original C)
v_add_f64 v[8:9], v[10:11], v[vgprValuC+12:vgprValuC+12+1] // newC = rC + originalC
_buffer_atomic_cmpswap_b64 v[8:11], v6, s[sgprSrdD:sgprSrdD+3] 0 offen offset:0 glc   // attempt write
s_waitcnt vmcnt(0)                                 // wait for atomic writes

/* apply masks and check for success */
s_mov_b64 exec, s[46:47]                           // must try again
v_cmp_ne_u64 s[42:43], v[8:9], v[10:11]            // c read during atomic != c read during prior load
s_and_b64 s[46:47], s[42:43], s[46:47]             // inBounds & must try again

/* or masks to check for exit */
s_mov_b64 s[42:43], 0x0                            // empty mask
s_or_b64 s[42:43], s[46:47], s[42:43]              // or to add threads
s_or_saveexec_b64 s[44:45], s[42:43]               // apply combined mask
s_cbranch_execnz label_0083                        // try again if not complete
label_0084:
s_mov_b64 exec, -1                                 // full mask -> exec
s_nop 0                                            // 1 wait state required when next inst writes vgprs held by previous dwordx4 store inst
/* optSingleColVgpr=0 optSharedColVgpr=0 optSGPRUsage=None optSrdIncForRow=0 */

/******************************************/
/* Global Write Alpha Batch #21 (d1,d0,vc1,vc0) = */
/*    (5,0,0,1:vw1:vaw:1)                 */
/******************************************/

/* calc coords, apply mask, and issue loads (if necessary) */
/* (d1,vc1,d0,vc0)=(5,0,0,1) */
_v_add_co_u32 v4, vcc, v0, 1                       // coord0.1: coord0 += d0*sg0*VW + vc0
_v_add_lshl_u32 v6, v3, v4, 0x3                    // scaleToBpe: accumulate d0 lower and *= bpe into Cin addr
_buffer_load_b64 v[10:11], v6, s[sgprSrdD:sgprSrdD+3], 0, offen offset:0 // load D (atomic) bpm=8 vaw=1
v_accvgpr_read_b32 v[vgprValuC+12], acc42 // copy acc to vreg[42]
v_accvgpr_read_b32 v[vgprValuC+13], acc43 // copy acc to vreg[43]
s_nop 1                                            // 2 wait states required before reading vgpr

/* rC *= alpha batchElements=[(5, 0, 0, 1)] */
v_mul_f64 v[vgprValuC+12:vgprValuC+12+1], s[sgprAlpha:sgprAlpha+1], v[vgprValuC+12:vgprValuC+12+1] // *= alpha
s_waitcnt vmcnt(0)                                 // wait C (atomic)

/* issue first atomic writes */
v_add_f64 v[8:9], v[10:11], v[vgprValuC+12:vgprValuC+12+1] // desired value
_buffer_atomic_cmpswap_b64 v[8:11], v6, s[sgprSrdD:sgprSrdD+3] 0 offen offset:0 glc   // attempt write
s_waitcnt vmcnt(0)                                 // wait for atomic writes

/* check success of writes, update masks */
v_cmp_ne_u64 s[46:47], v[8:9], v[10:11]            // c read during atomic != c read during prior load

/* or masks to check for exit */
s_mov_b64 s[42:43], 0x0                            // empty mask
s_or_b64 s[42:43], s[46:47], s[42:43]              // or to add threads
s_or_saveexec_b64 s[44:45], s[42:43]               // apply combined mask
s_cbranch_execz label_0086                         // if exec is zero skip loop

/* atomic CAS loop */
label_0085:

/* apply updated masks and issue writes again */
s_mov_b64 exec, s[46:47]                           // must try again
v_mov_b32 v10, v8                                  // dataV+2 = tmp (new original C)
v_mov_b32 v11, v9                                  // dataV+3 = tmp (new original C)
v_add_f64 v[8:9], v[10:11], v[vgprValuC+12:vgprValuC+12+1] // newC = rC + originalC
_buffer_atomic_cmpswap_b64 v[8:11], v6, s[sgprSrdD:sgprSrdD+3] 0 offen offset:0 glc   // attempt write
s_waitcnt vmcnt(0)                                 // wait for atomic writes

/* apply masks and check for success */
s_mov_b64 exec, s[46:47]                           // must try again
v_cmp_ne_u64 s[42:43], v[8:9], v[10:11]            // c read during atomic != c read during prior load
s_and_b64 s[46:47], s[42:43], s[46:47]             // inBounds & must try again

/* or masks to check for exit */
s_mov_b64 s[42:43], 0x0                            // empty mask
s_or_b64 s[42:43], s[46:47], s[42:43]              // or to add threads
s_or_saveexec_b64 s[44:45], s[42:43]               // apply combined mask
s_cbranch_execnz label_0085                        // try again if not complete
label_0086:
s_mov_b64 exec, -1                                 // full mask -> exec
s_nop 0                                            // 1 wait state required when next inst writes vgprs held by previous dwordx4 store inst
/* optSingleColVgpr=0 optSharedColVgpr=0 optSGPRUsage=None optSrdIncForRow=0 */

/******************************************/
/* Global Write Alpha Batch #22 (d1,d0,vc1,vc0) = */
/*    (5,1,0,0:vw1:vaw:1)                 */
/******************************************/

/* calc coords, apply mask, and issue loads (if necessary) */
/* (d1,vc1,d0,vc0)=(5,0,1,0) */
_v_add_co_u32 v4, vcc, v0, 64                      // coord0.1: coord0 += d0*sg0*VW + vc0
_v_add_lshl_u32 v6, v3, v4, 0x3                    // scaleToBpe: accumulate d0 lower and *= bpe into Cin addr
_buffer_load_b64 v[10:11], v6, s[sgprSrdD:sgprSrdD+3], 0, offen offset:0 // load D (atomic) bpm=8 vaw=1
v_accvgpr_read_b32 v[vgprValuC+12], acc50 // copy acc to vreg[44]
v_accvgpr_read_b32 v[vgprValuC+13], acc51 // copy acc to vreg[45]
s_nop 1                                            // 2 wait states required before reading vgpr

/* rC *= alpha batchElements=[(5, 1, 0, 0)] */
v_mul_f64 v[vgprValuC+12:vgprValuC+12+1], s[sgprAlpha:sgprAlpha+1], v[vgprValuC+12:vgprValuC+12+1] // *= alpha
s_waitcnt vmcnt(0)                                 // wait C (atomic)

/* issue first atomic writes */
v_add_f64 v[8:9], v[10:11], v[vgprValuC+12:vgprValuC+12+1] // desired value
_buffer_atomic_cmpswap_b64 v[8:11], v6, s[sgprSrdD:sgprSrdD+3] 0 offen offset:0 glc   // attempt write
s_waitcnt vmcnt(0)                                 // wait for atomic writes

/* check success of writes, update masks */
v_cmp_ne_u64 s[46:47], v[8:9], v[10:11]            // c read during atomic != c read during prior load

/* or masks to check for exit */
s_mov_b64 s[42:43], 0x0                            // empty mask
s_or_b64 s[42:43], s[46:47], s[42:43]              // or to add threads
s_or_saveexec_b64 s[44:45], s[42:43]               // apply combined mask
s_cbranch_execz label_0088                         // if exec is zero skip loop

/* atomic CAS loop */
label_0087:

/* apply updated masks and issue writes again */
s_mov_b64 exec, s[46:47]                           // must try again
v_mov_b32 v10, v8                                  // dataV+2 = tmp (new original C)
v_mov_b32 v11, v9                                  // dataV+3 = tmp (new original C)
v_add_f64 v[8:9], v[10:11], v[vgprValuC+12:vgprValuC+12+1] // newC = rC + originalC
_buffer_atomic_cmpswap_b64 v[8:11], v6, s[sgprSrdD:sgprSrdD+3] 0 offen offset:0 glc   // attempt write
s_waitcnt vmcnt(0)                                 // wait for atomic writes

/* apply masks and check for success */
s_mov_b64 exec, s[46:47]                           // must try again
v_cmp_ne_u64 s[42:43], v[8:9], v[10:11]            // c read during atomic != c read during prior load
s_and_b64 s[46:47], s[42:43], s[46:47]             // inBounds & must try again

/* or masks to check for exit */
s_mov_b64 s[42:43], 0x0                            // empty mask
s_or_b64 s[42:43], s[46:47], s[42:43]              // or to add threads
s_or_saveexec_b64 s[44:45], s[42:43]               // apply combined mask
s_cbranch_execnz label_0087                        // try again if not complete
label_0088:
s_mov_b64 exec, -1                                 // full mask -> exec
s_nop 0                                            // 1 wait state required when next inst writes vgprs held by previous dwordx4 store inst
/* optSingleColVgpr=0 optSharedColVgpr=0 optSGPRUsage=None optSrdIncForRow=0 */

/******************************************/
/* Global Write Alpha Batch #23 (d1,d0,vc1,vc0) = */
/*    (5,1,0,1:vw1:vaw:1)                 */
/******************************************/

/* calc coords, apply mask, and issue loads (if necessary) */
/* (d1,vc1,d0,vc0)=(5,0,1,1) */
s_mov_b32 s42, 65                                  // coordOffset0 d0=1 vc0=1
_v_add_co_u32 v4, vcc, v0, s42                     // coord0.2: coord0 += d0*sg0*VW + vc0
_v_add_lshl_u32 v6, v3, v4, 0x3                    // scaleToBpe: accumulate d0 lower and *= bpe into Cin addr
_buffer_load_b64 v[10:11], v6, s[sgprSrdD:sgprSrdD+3], 0, offen offset:0 // load D (atomic) bpm=8 vaw=1
v_accvgpr_read_b32 v[vgprValuC+12], acc58 // copy acc to vreg[46]
v_accvgpr_read_b32 v[vgprValuC+13], acc59 // copy acc to vreg[47]
s_nop 1                                            // 2 wait states required before reading vgpr

/* rC *= alpha batchElements=[(5, 1, 0, 1)] */
v_mul_f64 v[vgprValuC+12:vgprValuC+12+1], s[sgprAlpha:sgprAlpha+1], v[vgprValuC+12:vgprValuC+12+1] // *= alpha
s_waitcnt vmcnt(0)                                 // wait C (atomic)

/* issue first atomic writes */
v_add_f64 v[8:9], v[10:11], v[vgprValuC+12:vgprValuC+12+1] // desired value
_buffer_atomic_cmpswap_b64 v[8:11], v6, s[sgprSrdD:sgprSrdD+3] 0 offen offset:0 glc   // attempt write
s_waitcnt vmcnt(0)                                 // wait for atomic writes

/* check success of writes, update masks */
v_cmp_ne_u64 s[46:47], v[8:9], v[10:11]            // c read during atomic != c read during prior load

/* or masks to check for exit */
s_mov_b64 s[42:43], 0x0                            // empty mask
s_or_b64 s[42:43], s[46:47], s[42:43]              // or to add threads
s_or_saveexec_b64 s[44:45], s[42:43]               // apply combined mask
s_cbranch_execz label_0090                         // if exec is zero skip loop

/* atomic CAS loop */
label_0089:

/* apply updated masks and issue writes again */
s_mov_b64 exec, s[46:47]                           // must try again
v_mov_b32 v10, v8                                  // dataV+2 = tmp (new original C)
v_mov_b32 v11, v9                                  // dataV+3 = tmp (new original C)
v_add_f64 v[8:9], v[10:11], v[vgprValuC+12:vgprValuC+12+1] // newC = rC + originalC
_buffer_atomic_cmpswap_b64 v[8:11], v6, s[sgprSrdD:sgprSrdD+3] 0 offen offset:0 glc   // attempt write
s_waitcnt vmcnt(0)                                 // wait for atomic writes

/* apply masks and check for success */
s_mov_b64 exec, s[46:47]                           // must try again
v_cmp_ne_u64 s[42:43], v[8:9], v[10:11]            // c read during atomic != c read during prior load
s_and_b64 s[46:47], s[42:43], s[46:47]             // inBounds & must try again

/* or masks to check for exit */
s_mov_b64 s[42:43], 0x0                            // empty mask
s_or_b64 s[42:43], s[46:47], s[42:43]              // or to add threads
s_or_saveexec_b64 s[44:45], s[42:43]               // apply combined mask
s_cbranch_execnz label_0089                        // try again if not complete
label_0090:
s_mov_b64 exec, -1                                 // full mask -> exec
s_nop 0                                            // 1 wait state required when next inst writes vgprs held by previous dwordx4 store inst
/* optSingleColVgpr=0 optSharedColVgpr=0 optSGPRUsage=None optSrdIncForRow=0 */

/******************************************/
/* Global Write Alpha Batch #24 (d1,d0,vc1,vc0) = */
/*    (6,0,0,0:vw1:vaw:1)                 */
/******************************************/

/* calc coords, apply mask, and issue loads (if necessary) */
/* (d1,vc1,d0,vc0)=(6,0,0,0) */

/* Fix for UseInitialStridesCD, emitAddressSetupCode */
s_mul_i32 s42, s[sgprStrideC1J], 4                 // scale stride
_v_add_u32 v2, v2, s42                             // ROWINC- Move cinRowPtr to next row
s_mul_i32 s42, s[sgprStrideD1J], 4                 // scale stride
_v_add_u32 v3, v3, s42                             // Move coutRowPtr to next row
_v_add_lshl_u32 v6, v3, v0, 0x3                    // scaleToBpe: accumulate d0 lower and *= bpe into Cin addr
_buffer_load_b64 v[10:11], v6, s[sgprSrdD:sgprSrdD+3], 0, offen offset:0 // load D (atomic) bpm=8 vaw=1
v_accvgpr_read_b32 v[vgprValuC+12], acc36 // copy acc to vreg[48]
v_accvgpr_read_b32 v[vgprValuC+13], acc37 // copy acc to vreg[49]
s_nop 1                                            // 2 wait states required before reading vgpr

/* rC *= alpha batchElements=[(6, 0, 0, 0)] */
v_mul_f64 v[vgprValuC+12:vgprValuC+12+1], s[sgprAlpha:sgprAlpha+1], v[vgprValuC+12:vgprValuC+12+1] // *= alpha
s_waitcnt vmcnt(0)                                 // wait C (atomic)

/* issue first atomic writes */
v_add_f64 v[8:9], v[10:11], v[vgprValuC+12:vgprValuC+12+1] // desired value
_buffer_atomic_cmpswap_b64 v[8:11], v6, s[sgprSrdD:sgprSrdD+3] 0 offen offset:0 glc   // attempt write
s_waitcnt vmcnt(0)                                 // wait for atomic writes

/* check success of writes, update masks */
v_cmp_ne_u64 s[46:47], v[8:9], v[10:11]            // c read during atomic != c read during prior load

/* or masks to check for exit */
s_mov_b64 s[42:43], 0x0                            // empty mask
s_or_b64 s[42:43], s[46:47], s[42:43]              // or to add threads
s_or_saveexec_b64 s[44:45], s[42:43]               // apply combined mask
s_cbranch_execz label_0092                         // if exec is zero skip loop

/* atomic CAS loop */
label_0091:

/* apply updated masks and issue writes again */
s_mov_b64 exec, s[46:47]                           // must try again
v_mov_b32 v10, v8                                  // dataV+2 = tmp (new original C)
v_mov_b32 v11, v9                                  // dataV+3 = tmp (new original C)
v_add_f64 v[8:9], v[10:11], v[vgprValuC+12:vgprValuC+12+1] // newC = rC + originalC
_buffer_atomic_cmpswap_b64 v[8:11], v6, s[sgprSrdD:sgprSrdD+3] 0 offen offset:0 glc   // attempt write
s_waitcnt vmcnt(0)                                 // wait for atomic writes

/* apply masks and check for success */
s_mov_b64 exec, s[46:47]                           // must try again
v_cmp_ne_u64 s[42:43], v[8:9], v[10:11]            // c read during atomic != c read during prior load
s_and_b64 s[46:47], s[42:43], s[46:47]             // inBounds & must try again

/* or masks to check for exit */
s_mov_b64 s[42:43], 0x0                            // empty mask
s_or_b64 s[42:43], s[46:47], s[42:43]              // or to add threads
s_or_saveexec_b64 s[44:45], s[42:43]               // apply combined mask
s_cbranch_execnz label_0091                        // try again if not complete
label_0092:
s_mov_b64 exec, -1                                 // full mask -> exec
s_nop 0                                            // 1 wait state required when next inst writes vgprs held by previous dwordx4 store inst
/* optSingleColVgpr=0 optSharedColVgpr=0 optSGPRUsage=None optSrdIncForRow=0 */

/******************************************/
/* Global Write Alpha Batch #25 (d1,d0,vc1,vc0) = */
/*    (6,0,0,1:vw1:vaw:1)                 */
/******************************************/

/* calc coords, apply mask, and issue loads (if necessary) */
/* (d1,vc1,d0,vc0)=(6,0,0,1) */
_v_add_co_u32 v4, vcc, v0, 1                       // coord0.1: coord0 += d0*sg0*VW + vc0
_v_add_lshl_u32 v6, v3, v4, 0x3                    // scaleToBpe: accumulate d0 lower and *= bpe into Cin addr
_buffer_load_b64 v[10:11], v6, s[sgprSrdD:sgprSrdD+3], 0, offen offset:0 // load D (atomic) bpm=8 vaw=1
v_accvgpr_read_b32 v[vgprValuC+12], acc44 // copy acc to vreg[50]
v_accvgpr_read_b32 v[vgprValuC+13], acc45 // copy acc to vreg[51]
s_nop 1                                            // 2 wait states required before reading vgpr

/* rC *= alpha batchElements=[(6, 0, 0, 1)] */
v_mul_f64 v[vgprValuC+12:vgprValuC+12+1], s[sgprAlpha:sgprAlpha+1], v[vgprValuC+12:vgprValuC+12+1] // *= alpha
s_waitcnt vmcnt(0)                                 // wait C (atomic)

/* issue first atomic writes */
v_add_f64 v[8:9], v[10:11], v[vgprValuC+12:vgprValuC+12+1] // desired value
_buffer_atomic_cmpswap_b64 v[8:11], v6, s[sgprSrdD:sgprSrdD+3] 0 offen offset:0 glc   // attempt write
s_waitcnt vmcnt(0)                                 // wait for atomic writes

/* check success of writes, update masks */
v_cmp_ne_u64 s[46:47], v[8:9], v[10:11]            // c read during atomic != c read during prior load

/* or masks to check for exit */
s_mov_b64 s[42:43], 0x0                            // empty mask
s_or_b64 s[42:43], s[46:47], s[42:43]              // or to add threads
s_or_saveexec_b64 s[44:45], s[42:43]               // apply combined mask
s_cbranch_execz label_0094                         // if exec is zero skip loop

/* atomic CAS loop */
label_0093:

/* apply updated masks and issue writes again */
s_mov_b64 exec, s[46:47]                           // must try again
v_mov_b32 v10, v8                                  // dataV+2 = tmp (new original C)
v_mov_b32 v11, v9                                  // dataV+3 = tmp (new original C)
v_add_f64 v[8:9], v[10:11], v[vgprValuC+12:vgprValuC+12+1] // newC = rC + originalC
_buffer_atomic_cmpswap_b64 v[8:11], v6, s[sgprSrdD:sgprSrdD+3] 0 offen offset:0 glc   // attempt write
s_waitcnt vmcnt(0)                                 // wait for atomic writes

/* apply masks and check for success */
s_mov_b64 exec, s[46:47]                           // must try again
v_cmp_ne_u64 s[42:43], v[8:9], v[10:11]            // c read during atomic != c read during prior load
s_and_b64 s[46:47], s[42:43], s[46:47]             // inBounds & must try again

/* or masks to check for exit */
s_mov_b64 s[42:43], 0x0                            // empty mask
s_or_b64 s[42:43], s[46:47], s[42:43]              // or to add threads
s_or_saveexec_b64 s[44:45], s[42:43]               // apply combined mask
s_cbranch_execnz label_0093                        // try again if not complete
label_0094:
s_mov_b64 exec, -1                                 // full mask -> exec
s_nop 0                                            // 1 wait state required when next inst writes vgprs held by previous dwordx4 store inst
/* optSingleColVgpr=0 optSharedColVgpr=0 optSGPRUsage=None optSrdIncForRow=0 */

/******************************************/
/* Global Write Alpha Batch #26 (d1,d0,vc1,vc0) = */
/*    (6,1,0,0:vw1:vaw:1)                 */
/******************************************/

/* calc coords, apply mask, and issue loads (if necessary) */
/* (d1,vc1,d0,vc0)=(6,0,1,0) */
_v_add_co_u32 v4, vcc, v0, 64                      // coord0.1: coord0 += d0*sg0*VW + vc0
_v_add_lshl_u32 v6, v3, v4, 0x3                    // scaleToBpe: accumulate d0 lower and *= bpe into Cin addr
_buffer_load_b64 v[10:11], v6, s[sgprSrdD:sgprSrdD+3], 0, offen offset:0 // load D (atomic) bpm=8 vaw=1
v_accvgpr_read_b32 v[vgprValuC+12], acc52 // copy acc to vreg[52]
v_accvgpr_read_b32 v[vgprValuC+13], acc53 // copy acc to vreg[53]
s_nop 1                                            // 2 wait states required before reading vgpr

/* rC *= alpha batchElements=[(6, 1, 0, 0)] */
v_mul_f64 v[vgprValuC+12:vgprValuC+12+1], s[sgprAlpha:sgprAlpha+1], v[vgprValuC+12:vgprValuC+12+1] // *= alpha
s_waitcnt vmcnt(0)                                 // wait C (atomic)

/* issue first atomic writes */
v_add_f64 v[8:9], v[10:11], v[vgprValuC+12:vgprValuC+12+1] // desired value
_buffer_atomic_cmpswap_b64 v[8:11], v6, s[sgprSrdD:sgprSrdD+3] 0 offen offset:0 glc   // attempt write
s_waitcnt vmcnt(0)                                 // wait for atomic writes

/* check success of writes, update masks */
v_cmp_ne_u64 s[46:47], v[8:9], v[10:11]            // c read during atomic != c read during prior load

/* or masks to check for exit */
s_mov_b64 s[42:43], 0x0                            // empty mask
s_or_b64 s[42:43], s[46:47], s[42:43]              // or to add threads
s_or_saveexec_b64 s[44:45], s[42:43]               // apply combined mask
s_cbranch_execz label_0096                         // if exec is zero skip loop

/* atomic CAS loop */
label_0095:

/* apply updated masks and issue writes again */
s_mov_b64 exec, s[46:47]                           // must try again
v_mov_b32 v10, v8                                  // dataV+2 = tmp (new original C)
v_mov_b32 v11, v9                                  // dataV+3 = tmp (new original C)
v_add_f64 v[8:9], v[10:11], v[vgprValuC+12:vgprValuC+12+1] // newC = rC + originalC
_buffer_atomic_cmpswap_b64 v[8:11], v6, s[sgprSrdD:sgprSrdD+3] 0 offen offset:0 glc   // attempt write
s_waitcnt vmcnt(0)                                 // wait for atomic writes

/* apply masks and check for success */
s_mov_b64 exec, s[46:47]                           // must try again
v_cmp_ne_u64 s[42:43], v[8:9], v[10:11]            // c read during atomic != c read during prior load
s_and_b64 s[46:47], s[42:43], s[46:47]             // inBounds & must try again

/* or masks to check for exit */
s_mov_b64 s[42:43], 0x0                            // empty mask
s_or_b64 s[42:43], s[46:47], s[42:43]              // or to add threads
s_or_saveexec_b64 s[44:45], s[42:43]               // apply combined mask
s_cbranch_execnz label_0095                        // try again if not complete
label_0096:
s_mov_b64 exec, -1                                 // full mask -> exec
s_nop 0                                            // 1 wait state required when next inst writes vgprs held by previous dwordx4 store inst
/* optSingleColVgpr=0 optSharedColVgpr=0 optSGPRUsage=None optSrdIncForRow=0 */

/******************************************/
/* Global Write Alpha Batch #27 (d1,d0,vc1,vc0) = */
/*    (6,1,0,1:vw1:vaw:1)                 */
/******************************************/

/* calc coords, apply mask, and issue loads (if necessary) */
/* (d1,vc1,d0,vc0)=(6,0,1,1) */
s_mov_b32 s42, 65                                  // coordOffset0 d0=1 vc0=1
_v_add_co_u32 v4, vcc, v0, s42                     // coord0.2: coord0 += d0*sg0*VW + vc0
_v_add_lshl_u32 v6, v3, v4, 0x3                    // scaleToBpe: accumulate d0 lower and *= bpe into Cin addr
_buffer_load_b64 v[10:11], v6, s[sgprSrdD:sgprSrdD+3], 0, offen offset:0 // load D (atomic) bpm=8 vaw=1
v_accvgpr_read_b32 v[vgprValuC+12], acc60 // copy acc to vreg[54]
v_accvgpr_read_b32 v[vgprValuC+13], acc61 // copy acc to vreg[55]
s_nop 1                                            // 2 wait states required before reading vgpr

/* rC *= alpha batchElements=[(6, 1, 0, 1)] */
v_mul_f64 v[vgprValuC+12:vgprValuC+12+1], s[sgprAlpha:sgprAlpha+1], v[vgprValuC+12:vgprValuC+12+1] // *= alpha
s_waitcnt vmcnt(0)                                 // wait C (atomic)

/* issue first atomic writes */
v_add_f64 v[8:9], v[10:11], v[vgprValuC+12:vgprValuC+12+1] // desired value
_buffer_atomic_cmpswap_b64 v[8:11], v6, s[sgprSrdD:sgprSrdD+3] 0 offen offset:0 glc   // attempt write
s_waitcnt vmcnt(0)                                 // wait for atomic writes

/* check success of writes, update masks */
v_cmp_ne_u64 s[46:47], v[8:9], v[10:11]            // c read during atomic != c read during prior load

/* or masks to check for exit */
s_mov_b64 s[42:43], 0x0                            // empty mask
s_or_b64 s[42:43], s[46:47], s[42:43]              // or to add threads
s_or_saveexec_b64 s[44:45], s[42:43]               // apply combined mask
s_cbranch_execz label_0098                         // if exec is zero skip loop

/* atomic CAS loop */
label_0097:

/* apply updated masks and issue writes again */
s_mov_b64 exec, s[46:47]                           // must try again
v_mov_b32 v10, v8                                  // dataV+2 = tmp (new original C)
v_mov_b32 v11, v9                                  // dataV+3 = tmp (new original C)
v_add_f64 v[8:9], v[10:11], v[vgprValuC+12:vgprValuC+12+1] // newC = rC + originalC
_buffer_atomic_cmpswap_b64 v[8:11], v6, s[sgprSrdD:sgprSrdD+3] 0 offen offset:0 glc   // attempt write
s_waitcnt vmcnt(0)                                 // wait for atomic writes

/* apply masks and check for success */
s_mov_b64 exec, s[46:47]                           // must try again
v_cmp_ne_u64 s[42:43], v[8:9], v[10:11]            // c read during atomic != c read during prior load
s_and_b64 s[46:47], s[42:43], s[46:47]             // inBounds & must try again

/* or masks to check for exit */
s_mov_b64 s[42:43], 0x0                            // empty mask
s_or_b64 s[42:43], s[46:47], s[42:43]              // or to add threads
s_or_saveexec_b64 s[44:45], s[42:43]               // apply combined mask
s_cbranch_execnz label_0097                        // try again if not complete
label_0098:
s_mov_b64 exec, -1                                 // full mask -> exec
s_nop 0                                            // 1 wait state required when next inst writes vgprs held by previous dwordx4 store inst
/* optSingleColVgpr=0 optSharedColVgpr=0 optSGPRUsage=None optSrdIncForRow=0 */

/******************************************/
/* Global Write Alpha Batch #28 (d1,d0,vc1,vc0) = */
/*    (7,0,0,0:vw1:vaw:1)                 */
/******************************************/

/* calc coords, apply mask, and issue loads (if necessary) */
/* (d1,vc1,d0,vc0)=(7,0,0,0) */

/* Fix for UseInitialStridesCD, emitAddressSetupCode */
s_mul_i32 s42, s[sgprStrideC1J], 4                 // scale stride
_v_add_u32 v2, v2, s42                             // ROWINC- Move cinRowPtr to next row
s_mul_i32 s42, s[sgprStrideD1J], 4                 // scale stride
_v_add_u32 v3, v3, s42                             // Move coutRowPtr to next row
_v_add_lshl_u32 v6, v3, v0, 0x3                    // scaleToBpe: accumulate d0 lower and *= bpe into Cin addr
_buffer_load_b64 v[10:11], v6, s[sgprSrdD:sgprSrdD+3], 0, offen offset:0 // load D (atomic) bpm=8 vaw=1
v_accvgpr_read_b32 v[vgprValuC+12], acc38 // copy acc to vreg[56]
v_accvgpr_read_b32 v[vgprValuC+13], acc39 // copy acc to vreg[57]
s_nop 1                                            // 2 wait states required before reading vgpr

/* rC *= alpha batchElements=[(7, 0, 0, 0)] */
v_mul_f64 v[vgprValuC+12:vgprValuC+12+1], s[sgprAlpha:sgprAlpha+1], v[vgprValuC+12:vgprValuC+12+1] // *= alpha
s_waitcnt vmcnt(0)                                 // wait C (atomic)

/* issue first atomic writes */
v_add_f64 v[8:9], v[10:11], v[vgprValuC+12:vgprValuC+12+1] // desired value
_buffer_atomic_cmpswap_b64 v[8:11], v6, s[sgprSrdD:sgprSrdD+3] 0 offen offset:0 glc   // attempt write
s_waitcnt vmcnt(0)                                 // wait for atomic writes

/* check success of writes, update masks */
v_cmp_ne_u64 s[46:47], v[8:9], v[10:11]            // c read during atomic != c read during prior load

/* or masks to check for exit */
s_mov_b64 s[42:43], 0x0                            // empty mask
s_or_b64 s[42:43], s[46:47], s[42:43]              // or to add threads
s_or_saveexec_b64 s[44:45], s[42:43]               // apply combined mask
s_cbranch_execz label_0100                         // if exec is zero skip loop

/* atomic CAS loop */
label_0099:

/* apply updated masks and issue writes again */
s_mov_b64 exec, s[46:47]                           // must try again
v_mov_b32 v10, v8                                  // dataV+2 = tmp (new original C)
v_mov_b32 v11, v9                                  // dataV+3 = tmp (new original C)
v_add_f64 v[8:9], v[10:11], v[vgprValuC+12:vgprValuC+12+1] // newC = rC + originalC
_buffer_atomic_cmpswap_b64 v[8:11], v6, s[sgprSrdD:sgprSrdD+3] 0 offen offset:0 glc   // attempt write
s_waitcnt vmcnt(0)                                 // wait for atomic writes

/* apply masks and check for success */
s_mov_b64 exec, s[46:47]                           // must try again
v_cmp_ne_u64 s[42:43], v[8:9], v[10:11]            // c read during atomic != c read during prior load
s_and_b64 s[46:47], s[42:43], s[46:47]             // inBounds & must try again

/* or masks to check for exit */
s_mov_b64 s[42:43], 0x0                            // empty mask
s_or_b64 s[42:43], s[46:47], s[42:43]              // or to add threads
s_or_saveexec_b64 s[44:45], s[42:43]               // apply combined mask
s_cbranch_execnz label_0099                        // try again if not complete
label_0100:
s_mov_b64 exec, -1                                 // full mask -> exec
s_nop 0                                            // 1 wait state required when next inst writes vgprs held by previous dwordx4 store inst
/* optSingleColVgpr=0 optSharedColVgpr=0 optSGPRUsage=None optSrdIncForRow=0 */

/******************************************/
/* Global Write Alpha Batch #29 (d1,d0,vc1,vc0) = */
/*    (7,0,0,1:vw1:vaw:1)                 */
/******************************************/

/* calc coords, apply mask, and issue loads (if necessary) */
/* (d1,vc1,d0,vc0)=(7,0,0,1) */
_v_add_co_u32 v4, vcc, v0, 1                       // coord0.1: coord0 += d0*sg0*VW + vc0
_v_add_lshl_u32 v6, v3, v4, 0x3                    // scaleToBpe: accumulate d0 lower and *= bpe into Cin addr
_buffer_load_b64 v[10:11], v6, s[sgprSrdD:sgprSrdD+3], 0, offen offset:0 // load D (atomic) bpm=8 vaw=1
v_accvgpr_read_b32 v[vgprValuC+12], acc46 // copy acc to vreg[58]
v_accvgpr_read_b32 v[vgprValuC+13], acc47 // copy acc to vreg[59]
s_nop 1                                            // 2 wait states required before reading vgpr

/* rC *= alpha batchElements=[(7, 0, 0, 1)] */
v_mul_f64 v[vgprValuC+12:vgprValuC+12+1], s[sgprAlpha:sgprAlpha+1], v[vgprValuC+12:vgprValuC+12+1] // *= alpha
s_waitcnt vmcnt(0)                                 // wait C (atomic)

/* issue first atomic writes */
v_add_f64 v[8:9], v[10:11], v[vgprValuC+12:vgprValuC+12+1] // desired value
_buffer_atomic_cmpswap_b64 v[8:11], v6, s[sgprSrdD:sgprSrdD+3] 0 offen offset:0 glc   // attempt write
s_waitcnt vmcnt(0)                                 // wait for atomic writes

/* check success of writes, update masks */
v_cmp_ne_u64 s[46:47], v[8:9], v[10:11]            // c read during atomic != c read during prior load

/* or masks to check for exit */
s_mov_b64 s[42:43], 0x0                            // empty mask
s_or_b64 s[42:43], s[46:47], s[42:43]              // or to add threads
s_or_saveexec_b64 s[44:45], s[42:43]               // apply combined mask
s_cbranch_execz label_0102                         // if exec is zero skip loop

/* atomic CAS loop */
label_0101:

/* apply updated masks and issue writes again */
s_mov_b64 exec, s[46:47]                           // must try again
v_mov_b32 v10, v8                                  // dataV+2 = tmp (new original C)
v_mov_b32 v11, v9                                  // dataV+3 = tmp (new original C)
v_add_f64 v[8:9], v[10:11], v[vgprValuC+12:vgprValuC+12+1] // newC = rC + originalC
_buffer_atomic_cmpswap_b64 v[8:11], v6, s[sgprSrdD:sgprSrdD+3] 0 offen offset:0 glc   // attempt write
s_waitcnt vmcnt(0)                                 // wait for atomic writes

/* apply masks and check for success */
s_mov_b64 exec, s[46:47]                           // must try again
v_cmp_ne_u64 s[42:43], v[8:9], v[10:11]            // c read during atomic != c read during prior load
s_and_b64 s[46:47], s[42:43], s[46:47]             // inBounds & must try again

/* or masks to check for exit */
s_mov_b64 s[42:43], 0x0                            // empty mask
s_or_b64 s[42:43], s[46:47], s[42:43]              // or to add threads
s_or_saveexec_b64 s[44:45], s[42:43]               // apply combined mask
s_cbranch_execnz label_0101                        // try again if not complete
label_0102:
s_mov_b64 exec, -1                                 // full mask -> exec
s_nop 0                                            // 1 wait state required when next inst writes vgprs held by previous dwordx4 store inst
/* optSingleColVgpr=0 optSharedColVgpr=0 optSGPRUsage=None optSrdIncForRow=0 */

/******************************************/
/* Global Write Alpha Batch #30 (d1,d0,vc1,vc0) = */
/*    (7,1,0,0:vw1:vaw:1)                 */
/******************************************/

/* calc coords, apply mask, and issue loads (if necessary) */
/* (d1,vc1,d0,vc0)=(7,0,1,0) */
_v_add_co_u32 v4, vcc, v0, 64                      // coord0.1: coord0 += d0*sg0*VW + vc0
_v_add_lshl_u32 v6, v3, v4, 0x3                    // scaleToBpe: accumulate d0 lower and *= bpe into Cin addr
_buffer_load_b64 v[10:11], v6, s[sgprSrdD:sgprSrdD+3], 0, offen offset:0 // load D (atomic) bpm=8 vaw=1
v_accvgpr_read_b32 v[vgprValuC+12], acc54 // copy acc to vreg[60]
v_accvgpr_read_b32 v[vgprValuC+13], acc55 // copy acc to vreg[61]
s_nop 1                                            // 2 wait states required before reading vgpr

/* rC *= alpha batchElements=[(7, 1, 0, 0)] */
v_mul_f64 v[vgprValuC+12:vgprValuC+12+1], s[sgprAlpha:sgprAlpha+1], v[vgprValuC+12:vgprValuC+12+1] // *= alpha
s_waitcnt vmcnt(0)                                 // wait C (atomic)

/* issue first atomic writes */
v_add_f64 v[8:9], v[10:11], v[vgprValuC+12:vgprValuC+12+1] // desired value
_buffer_atomic_cmpswap_b64 v[8:11], v6, s[sgprSrdD:sgprSrdD+3] 0 offen offset:0 glc   // attempt write
s_waitcnt vmcnt(0)                                 // wait for atomic writes

/* check success of writes, update masks */
v_cmp_ne_u64 s[46:47], v[8:9], v[10:11]            // c read during atomic != c read during prior load

/* or masks to check for exit */
s_mov_b64 s[42:43], 0x0                            // empty mask
s_or_b64 s[42:43], s[46:47], s[42:43]              // or to add threads
s_or_saveexec_b64 s[44:45], s[42:43]               // apply combined mask
s_cbranch_execz label_0104                         // if exec is zero skip loop

/* atomic CAS loop */
label_0103:

/* apply updated masks and issue writes again */
s_mov_b64 exec, s[46:47]                           // must try again
v_mov_b32 v10, v8                                  // dataV+2 = tmp (new original C)
v_mov_b32 v11, v9                                  // dataV+3 = tmp (new original C)
v_add_f64 v[8:9], v[10:11], v[vgprValuC+12:vgprValuC+12+1] // newC = rC + originalC
_buffer_atomic_cmpswap_b64 v[8:11], v6, s[sgprSrdD:sgprSrdD+3] 0 offen offset:0 glc   // attempt write
s_waitcnt vmcnt(0)                                 // wait for atomic writes

/* apply masks and check for success */
s_mov_b64 exec, s[46:47]                           // must try again
v_cmp_ne_u64 s[42:43], v[8:9], v[10:11]            // c read during atomic != c read during prior load
s_and_b64 s[46:47], s[42:43], s[46:47]             // inBounds & must try again

/* or masks to check for exit */
s_mov_b64 s[42:43], 0x0                            // empty mask
s_or_b64 s[42:43], s[46:47], s[42:43]              // or to add threads
s_or_saveexec_b64 s[44:45], s[42:43]               // apply combined mask
s_cbranch_execnz label_0103                        // try again if not complete
label_0104:
s_mov_b64 exec, -1                                 // full mask -> exec
s_nop 0                                            // 1 wait state required when next inst writes vgprs held by previous dwordx4 store inst
/* optSingleColVgpr=0 optSharedColVgpr=0 optSGPRUsage=None optSrdIncForRow=0 */

/******************************************/
/* Global Write Alpha Batch #31 (d1,d0,vc1,vc0) = */
/*    (7,1,0,1:vw1:vaw:1)                 */
/******************************************/

/* calc coords, apply mask, and issue loads (if necessary) */
/* (d1,vc1,d0,vc0)=(7,0,1,1) */
s_mov_b32 s42, 65                                  // coordOffset0 d0=1 vc0=1
_v_add_co_u32 v4, vcc, v0, s42                     // coord0.2: coord0 += d0*sg0*VW + vc0
_v_add_lshl_u32 v6, v3, v4, 0x3                    // scaleToBpe: accumulate d0 lower and *= bpe into Cin addr
_buffer_load_b64 v[10:11], v6, s[sgprSrdD:sgprSrdD+3], 0, offen offset:0 // load D (atomic) bpm=8 vaw=1
v_accvgpr_read_b32 v[vgprValuC+12], acc62 // copy acc to vreg[62]
v_accvgpr_read_b32 v[vgprValuC+13], acc63 // copy acc to vreg[63]
s_nop 1                                            // 2 wait states required before reading vgpr

/* rC *= alpha batchElements=[(7, 1, 0, 1)] */
v_mul_f64 v[vgprValuC+12:vgprValuC+12+1], s[sgprAlpha:sgprAlpha+1], v[vgprValuC+12:vgprValuC+12+1] // *= alpha
s_waitcnt vmcnt(0)                                 // wait C (atomic)

/* issue first atomic writes */
v_add_f64 v[8:9], v[10:11], v[vgprValuC+12:vgprValuC+12+1] // desired value
_buffer_atomic_cmpswap_b64 v[8:11], v6, s[sgprSrdD:sgprSrdD+3] 0 offen offset:0 glc   // attempt write
s_waitcnt vmcnt(0)                                 // wait for atomic writes

/* check success of writes, update masks */
v_cmp_ne_u64 s[46:47], v[8:9], v[10:11]            // c read during atomic != c read during prior load

/* or masks to check for exit */
s_mov_b64 s[42:43], 0x0                            // empty mask
s_or_b64 s[42:43], s[46:47], s[42:43]              // or to add threads
s_or_saveexec_b64 s[44:45], s[42:43]               // apply combined mask
s_cbranch_execz label_0106                         // if exec is zero skip loop

/* atomic CAS loop */
label_0105:

/* apply updated masks and issue writes again */
s_mov_b64 exec, s[46:47]                           // must try again
v_mov_b32 v10, v8                                  // dataV+2 = tmp (new original C)
v_mov_b32 v11, v9                                  // dataV+3 = tmp (new original C)
v_add_f64 v[8:9], v[10:11], v[vgprValuC+12:vgprValuC+12+1] // newC = rC + originalC
_buffer_atomic_cmpswap_b64 v[8:11], v6, s[sgprSrdD:sgprSrdD+3] 0 offen offset:0 glc   // attempt write
s_waitcnt vmcnt(0)                                 // wait for atomic writes

/* apply masks and check for success */
s_mov_b64 exec, s[46:47]                           // must try again
v_cmp_ne_u64 s[42:43], v[8:9], v[10:11]            // c read during atomic != c read during prior load
s_and_b64 s[46:47], s[42:43], s[46:47]             // inBounds & must try again

/* or masks to check for exit */
s_mov_b64 s[42:43], 0x0                            // empty mask
s_or_b64 s[42:43], s[46:47], s[42:43]              // or to add threads
s_or_saveexec_b64 s[44:45], s[42:43]               // apply combined mask
s_cbranch_execnz label_0105                        // try again if not complete
label_0106:
s_mov_b64 exec, -1                                 // full mask -> exec
s_nop 0                                            // 1 wait state required when next inst writes vgprs held by previous dwordx4 store inst
/* optSingleColVgpr=0 optSharedColVgpr=0 optSGPRUsage=None optSrdIncForRow=0 */

/******************************************/
/* Global Write Alpha Batch #32 (d1,d0,vc1,vc0) = */
/*    (8,0,0,0:vw1:vaw:1)                 */
/******************************************/

/* calc coords, apply mask, and issue loads (if necessary) */
/* (d1,vc1,d0,vc0)=(8,0,0,0) */

/* Fix for UseInitialStridesCD, emitAddressSetupCode */
s_mul_i32 s42, s[sgprStrideC1J], 20                // scale stride
_v_add_u32 v2, v2, s42                             // ROWINC- Move cinRowPtr to next row
s_mul_i32 s42, s[sgprStrideD1J], 20                // scale stride
_v_add_u32 v3, v3, s42                             // Move coutRowPtr to next row
_v_add_lshl_u32 v6, v3, v0, 0x3                    // scaleToBpe: accumulate d0 lower and *= bpe into Cin addr
_buffer_load_b64 v[10:11], v6, s[sgprSrdD:sgprSrdD+3], 0, offen offset:0 // load D (atomic) bpm=8 vaw=1
v_accvgpr_read_b32 v[vgprValuC+12], acc64 // copy acc to vreg[64]
v_accvgpr_read_b32 v[vgprValuC+13], acc65 // copy acc to vreg[65]
s_nop 1                                            // 2 wait states required before reading vgpr

/* rC *= alpha batchElements=[(8, 0, 0, 0)] */
v_mul_f64 v[vgprValuC+12:vgprValuC+12+1], s[sgprAlpha:sgprAlpha+1], v[vgprValuC+12:vgprValuC+12+1] // *= alpha
s_waitcnt vmcnt(0)                                 // wait C (atomic)

/* issue first atomic writes */
v_add_f64 v[8:9], v[10:11], v[vgprValuC+12:vgprValuC+12+1] // desired value
_buffer_atomic_cmpswap_b64 v[8:11], v6, s[sgprSrdD:sgprSrdD+3] 0 offen offset:0 glc   // attempt write
s_waitcnt vmcnt(0)                                 // wait for atomic writes

/* check success of writes, update masks */
v_cmp_ne_u64 s[46:47], v[8:9], v[10:11]            // c read during atomic != c read during prior load

/* or masks to check for exit */
s_mov_b64 s[42:43], 0x0                            // empty mask
s_or_b64 s[42:43], s[46:47], s[42:43]              // or to add threads
s_or_saveexec_b64 s[44:45], s[42:43]               // apply combined mask
s_cbranch_execz label_0108                         // if exec is zero skip loop

/* atomic CAS loop */
label_0107:

/* apply updated masks and issue writes again */
s_mov_b64 exec, s[46:47]                           // must try again
v_mov_b32 v10, v8                                  // dataV+2 = tmp (new original C)
v_mov_b32 v11, v9                                  // dataV+3 = tmp (new original C)
v_add_f64 v[8:9], v[10:11], v[vgprValuC+12:vgprValuC+12+1] // newC = rC + originalC
_buffer_atomic_cmpswap_b64 v[8:11], v6, s[sgprSrdD:sgprSrdD+3] 0 offen offset:0 glc   // attempt write
s_waitcnt vmcnt(0)                                 // wait for atomic writes

/* apply masks and check for success */
s_mov_b64 exec, s[46:47]                           // must try again
v_cmp_ne_u64 s[42:43], v[8:9], v[10:11]            // c read during atomic != c read during prior load
s_and_b64 s[46:47], s[42:43], s[46:47]             // inBounds & must try again

/* or masks to check for exit */
s_mov_b64 s[42:43], 0x0                            // empty mask
s_or_b64 s[42:43], s[46:47], s[42:43]              // or to add threads
s_or_saveexec_b64 s[44:45], s[42:43]               // apply combined mask
s_cbranch_execnz label_0107                        // try again if not complete
label_0108:
s_mov_b64 exec, -1                                 // full mask -> exec
s_nop 0                                            // 1 wait state required when next inst writes vgprs held by previous dwordx4 store inst
/* optSingleColVgpr=0 optSharedColVgpr=0 optSGPRUsage=None optSrdIncForRow=0 */

/******************************************/
/* Global Write Alpha Batch #33 (d1,d0,vc1,vc0) = */
/*    (8,0,0,1:vw1:vaw:1)                 */
/******************************************/

/* calc coords, apply mask, and issue loads (if necessary) */
/* (d1,vc1,d0,vc0)=(8,0,0,1) */
_v_add_co_u32 v4, vcc, v0, 1                       // coord0.1: coord0 += d0*sg0*VW + vc0
_v_add_lshl_u32 v6, v3, v4, 0x3                    // scaleToBpe: accumulate d0 lower and *= bpe into Cin addr
_buffer_load_b64 v[10:11], v6, s[sgprSrdD:sgprSrdD+3], 0, offen offset:0 // load D (atomic) bpm=8 vaw=1
v_accvgpr_read_b32 v[vgprValuC+12], acc72 // copy acc to vreg[66]
v_accvgpr_read_b32 v[vgprValuC+13], acc73 // copy acc to vreg[67]
s_nop 1                                            // 2 wait states required before reading vgpr

/* rC *= alpha batchElements=[(8, 0, 0, 1)] */
v_mul_f64 v[vgprValuC+12:vgprValuC+12+1], s[sgprAlpha:sgprAlpha+1], v[vgprValuC+12:vgprValuC+12+1] // *= alpha
s_waitcnt vmcnt(0)                                 // wait C (atomic)

/* issue first atomic writes */
v_add_f64 v[8:9], v[10:11], v[vgprValuC+12:vgprValuC+12+1] // desired value
_buffer_atomic_cmpswap_b64 v[8:11], v6, s[sgprSrdD:sgprSrdD+3] 0 offen offset:0 glc   // attempt write
s_waitcnt vmcnt(0)                                 // wait for atomic writes

/* check success of writes, update masks */
v_cmp_ne_u64 s[46:47], v[8:9], v[10:11]            // c read during atomic != c read during prior load

/* or masks to check for exit */
s_mov_b64 s[42:43], 0x0                            // empty mask
s_or_b64 s[42:43], s[46:47], s[42:43]              // or to add threads
s_or_saveexec_b64 s[44:45], s[42:43]               // apply combined mask
s_cbranch_execz label_0110                         // if exec is zero skip loop

/* atomic CAS loop */
label_0109:

/* apply updated masks and issue writes again */
s_mov_b64 exec, s[46:47]                           // must try again
v_mov_b32 v10, v8                                  // dataV+2 = tmp (new original C)
v_mov_b32 v11, v9                                  // dataV+3 = tmp (new original C)
v_add_f64 v[8:9], v[10:11], v[vgprValuC+12:vgprValuC+12+1] // newC = rC + originalC
_buffer_atomic_cmpswap_b64 v[8:11], v6, s[sgprSrdD:sgprSrdD+3] 0 offen offset:0 glc   // attempt write
s_waitcnt vmcnt(0)                                 // wait for atomic writes

/* apply masks and check for success */
s_mov_b64 exec, s[46:47]                           // must try again
v_cmp_ne_u64 s[42:43], v[8:9], v[10:11]            // c read during atomic != c read during prior load
s_and_b64 s[46:47], s[42:43], s[46:47]             // inBounds & must try again

/* or masks to check for exit */
s_mov_b64 s[42:43], 0x0                            // empty mask
s_or_b64 s[42:43], s[46:47], s[42:43]              // or to add threads
s_or_saveexec_b64 s[44:45], s[42:43]               // apply combined mask
s_cbranch_execnz label_0109                        // try again if not complete
label_0110:
s_mov_b64 exec, -1                                 // full mask -> exec
s_nop 0                                            // 1 wait state required when next inst writes vgprs held by previous dwordx4 store inst
/* optSingleColVgpr=0 optSharedColVgpr=0 optSGPRUsage=None optSrdIncForRow=0 */

/******************************************/
/* Global Write Alpha Batch #34 (d1,d0,vc1,vc0) = */
/*    (8,1,0,0:vw1:vaw:1)                 */
/******************************************/

/* calc coords, apply mask, and issue loads (if necessary) */
/* (d1,vc1,d0,vc0)=(8,0,1,0) */
_v_add_co_u32 v4, vcc, v0, 64                      // coord0.1: coord0 += d0*sg0*VW + vc0
_v_add_lshl_u32 v6, v3, v4, 0x3                    // scaleToBpe: accumulate d0 lower and *= bpe into Cin addr
_buffer_load_b64 v[10:11], v6, s[sgprSrdD:sgprSrdD+3], 0, offen offset:0 // load D (atomic) bpm=8 vaw=1
v_accvgpr_read_b32 v[vgprValuC+12], acc80 // copy acc to vreg[68]
v_accvgpr_read_b32 v[vgprValuC+13], acc81 // copy acc to vreg[69]
s_nop 1                                            // 2 wait states required before reading vgpr

/* rC *= alpha batchElements=[(8, 1, 0, 0)] */
v_mul_f64 v[vgprValuC+12:vgprValuC+12+1], s[sgprAlpha:sgprAlpha+1], v[vgprValuC+12:vgprValuC+12+1] // *= alpha
s_waitcnt vmcnt(0)                                 // wait C (atomic)

/* issue first atomic writes */
v_add_f64 v[8:9], v[10:11], v[vgprValuC+12:vgprValuC+12+1] // desired value
_buffer_atomic_cmpswap_b64 v[8:11], v6, s[sgprSrdD:sgprSrdD+3] 0 offen offset:0 glc   // attempt write
s_waitcnt vmcnt(0)                                 // wait for atomic writes

/* check success of writes, update masks */
v_cmp_ne_u64 s[46:47], v[8:9], v[10:11]            // c read during atomic != c read during prior load

/* or masks to check for exit */
s_mov_b64 s[42:43], 0x0                            // empty mask
s_or_b64 s[42:43], s[46:47], s[42:43]              // or to add threads
s_or_saveexec_b64 s[44:45], s[42:43]               // apply combined mask
s_cbranch_execz label_0112                         // if exec is zero skip loop

/* atomic CAS loop */
label_0111:

/* apply updated masks and issue writes again */
s_mov_b64 exec, s[46:47]                           // must try again
v_mov_b32 v10, v8                                  // dataV+2 = tmp (new original C)
v_mov_b32 v11, v9                                  // dataV+3 = tmp (new original C)
v_add_f64 v[8:9], v[10:11], v[vgprValuC+12:vgprValuC+12+1] // newC = rC + originalC
_buffer_atomic_cmpswap_b64 v[8:11], v6, s[sgprSrdD:sgprSrdD+3] 0 offen offset:0 glc   // attempt write
s_waitcnt vmcnt(0)                                 // wait for atomic writes

/* apply masks and check for success */
s_mov_b64 exec, s[46:47]                           // must try again
v_cmp_ne_u64 s[42:43], v[8:9], v[10:11]            // c read during atomic != c read during prior load
s_and_b64 s[46:47], s[42:43], s[46:47]             // inBounds & must try again

/* or masks to check for exit */
s_mov_b64 s[42:43], 0x0                            // empty mask
s_or_b64 s[42:43], s[46:47], s[42:43]              // or to add threads
s_or_saveexec_b64 s[44:45], s[42:43]               // apply combined mask
s_cbranch_execnz label_0111                        // try again if not complete
label_0112:
s_mov_b64 exec, -1                                 // full mask -> exec
s_nop 0                                            // 1 wait state required when next inst writes vgprs held by previous dwordx4 store inst
/* optSingleColVgpr=0 optSharedColVgpr=0 optSGPRUsage=None optSrdIncForRow=0 */

/******************************************/
/* Global Write Alpha Batch #35 (d1,d0,vc1,vc0) = */
/*    (8,1,0,1:vw1:vaw:1)                 */
/******************************************/

/* calc coords, apply mask, and issue loads (if necessary) */
/* (d1,vc1,d0,vc0)=(8,0,1,1) */
s_mov_b32 s42, 65                                  // coordOffset0 d0=1 vc0=1
_v_add_co_u32 v4, vcc, v0, s42                     // coord0.2: coord0 += d0*sg0*VW + vc0
_v_add_lshl_u32 v6, v3, v4, 0x3                    // scaleToBpe: accumulate d0 lower and *= bpe into Cin addr
_buffer_load_b64 v[10:11], v6, s[sgprSrdD:sgprSrdD+3], 0, offen offset:0 // load D (atomic) bpm=8 vaw=1
v_accvgpr_read_b32 v[vgprValuC+12], acc88 // copy acc to vreg[70]
v_accvgpr_read_b32 v[vgprValuC+13], acc89 // copy acc to vreg[71]
s_nop 1                                            // 2 wait states required before reading vgpr

/* rC *= alpha batchElements=[(8, 1, 0, 1)] */
v_mul_f64 v[vgprValuC+12:vgprValuC+12+1], s[sgprAlpha:sgprAlpha+1], v[vgprValuC+12:vgprValuC+12+1] // *= alpha
s_waitcnt vmcnt(0)                                 // wait C (atomic)

/* issue first atomic writes */
v_add_f64 v[8:9], v[10:11], v[vgprValuC+12:vgprValuC+12+1] // desired value
_buffer_atomic_cmpswap_b64 v[8:11], v6, s[sgprSrdD:sgprSrdD+3] 0 offen offset:0 glc   // attempt write
s_waitcnt vmcnt(0)                                 // wait for atomic writes

/* check success of writes, update masks */
v_cmp_ne_u64 s[46:47], v[8:9], v[10:11]            // c read during atomic != c read during prior load

/* or masks to check for exit */
s_mov_b64 s[42:43], 0x0                            // empty mask
s_or_b64 s[42:43], s[46:47], s[42:43]              // or to add threads
s_or_saveexec_b64 s[44:45], s[42:43]               // apply combined mask
s_cbranch_execz label_0114                         // if exec is zero skip loop

/* atomic CAS loop */
label_0113:

/* apply updated masks and issue writes again */
s_mov_b64 exec, s[46:47]                           // must try again
v_mov_b32 v10, v8                                  // dataV+2 = tmp (new original C)
v_mov_b32 v11, v9                                  // dataV+3 = tmp (new original C)
v_add_f64 v[8:9], v[10:11], v[vgprValuC+12:vgprValuC+12+1] // newC = rC + originalC
_buffer_atomic_cmpswap_b64 v[8:11], v6, s[sgprSrdD:sgprSrdD+3] 0 offen offset:0 glc   // attempt write
s_waitcnt vmcnt(0)                                 // wait for atomic writes

/* apply masks and check for success */
s_mov_b64 exec, s[46:47]                           // must try again
v_cmp_ne_u64 s[42:43], v[8:9], v[10:11]            // c read during atomic != c read during prior load
s_and_b64 s[46:47], s[42:43], s[46:47]             // inBounds & must try again

/* or masks to check for exit */
s_mov_b64 s[42:43], 0x0                            // empty mask
s_or_b64 s[42:43], s[46:47], s[42:43]              // or to add threads
s_or_saveexec_b64 s[44:45], s[42:43]               // apply combined mask
s_cbranch_execnz label_0113                        // try again if not complete
label_0114:
s_mov_b64 exec, -1                                 // full mask -> exec
s_nop 0                                            // 1 wait state required when next inst writes vgprs held by previous dwordx4 store inst
/* optSingleColVgpr=0 optSharedColVgpr=0 optSGPRUsage=None optSrdIncForRow=0 */

/******************************************/
/* Global Write Alpha Batch #36 (d1,d0,vc1,vc0) = */
/*    (9,0,0,0:vw1:vaw:1)                 */
/******************************************/

/* calc coords, apply mask, and issue loads (if necessary) */
/* (d1,vc1,d0,vc0)=(9,0,0,0) */

/* Fix for UseInitialStridesCD, emitAddressSetupCode */
s_mul_i32 s42, s[sgprStrideC1J], 4                 // scale stride
_v_add_u32 v2, v2, s42                             // ROWINC- Move cinRowPtr to next row
s_mul_i32 s42, s[sgprStrideD1J], 4                 // scale stride
_v_add_u32 v3, v3, s42                             // Move coutRowPtr to next row
_v_add_lshl_u32 v6, v3, v0, 0x3                    // scaleToBpe: accumulate d0 lower and *= bpe into Cin addr
_buffer_load_b64 v[10:11], v6, s[sgprSrdD:sgprSrdD+3], 0, offen offset:0 // load D (atomic) bpm=8 vaw=1
v_accvgpr_read_b32 v[vgprValuC+12], acc66 // copy acc to vreg[72]
v_accvgpr_read_b32 v[vgprValuC+13], acc67 // copy acc to vreg[73]
s_nop 1                                            // 2 wait states required before reading vgpr

/* rC *= alpha batchElements=[(9, 0, 0, 0)] */
v_mul_f64 v[vgprValuC+12:vgprValuC+12+1], s[sgprAlpha:sgprAlpha+1], v[vgprValuC+12:vgprValuC+12+1] // *= alpha
s_waitcnt vmcnt(0)                                 // wait C (atomic)

/* issue first atomic writes */
v_add_f64 v[8:9], v[10:11], v[vgprValuC+12:vgprValuC+12+1] // desired value
_buffer_atomic_cmpswap_b64 v[8:11], v6, s[sgprSrdD:sgprSrdD+3] 0 offen offset:0 glc   // attempt write
s_waitcnt vmcnt(0)                                 // wait for atomic writes

/* check success of writes, update masks */
v_cmp_ne_u64 s[46:47], v[8:9], v[10:11]            // c read during atomic != c read during prior load

/* or masks to check for exit */
s_mov_b64 s[42:43], 0x0                            // empty mask
s_or_b64 s[42:43], s[46:47], s[42:43]              // or to add threads
s_or_saveexec_b64 s[44:45], s[42:43]               // apply combined mask
s_cbranch_execz label_0116                         // if exec is zero skip loop

/* atomic CAS loop */
label_0115:

/* apply updated masks and issue writes again */
s_mov_b64 exec, s[46:47]                           // must try again
v_mov_b32 v10, v8                                  // dataV+2 = tmp (new original C)
v_mov_b32 v11, v9                                  // dataV+3 = tmp (new original C)
v_add_f64 v[8:9], v[10:11], v[vgprValuC+12:vgprValuC+12+1] // newC = rC + originalC
_buffer_atomic_cmpswap_b64 v[8:11], v6, s[sgprSrdD:sgprSrdD+3] 0 offen offset:0 glc   // attempt write
s_waitcnt vmcnt(0)                                 // wait for atomic writes

/* apply masks and check for success */
s_mov_b64 exec, s[46:47]                           // must try again
v_cmp_ne_u64 s[42:43], v[8:9], v[10:11]            // c read during atomic != c read during prior load
s_and_b64 s[46:47], s[42:43], s[46:47]             // inBounds & must try again

/* or masks to check for exit */
s_mov_b64 s[42:43], 0x0                            // empty mask
s_or_b64 s[42:43], s[46:47], s[42:43]              // or to add threads
s_or_saveexec_b64 s[44:45], s[42:43]               // apply combined mask
s_cbranch_execnz label_0115                        // try again if not complete
label_0116:
s_mov_b64 exec, -1                                 // full mask -> exec
s_nop 0                                            // 1 wait state required when next inst writes vgprs held by previous dwordx4 store inst
/* optSingleColVgpr=0 optSharedColVgpr=0 optSGPRUsage=None optSrdIncForRow=0 */

/******************************************/
/* Global Write Alpha Batch #37 (d1,d0,vc1,vc0) = */
/*    (9,0,0,1:vw1:vaw:1)                 */
/******************************************/

/* calc coords, apply mask, and issue loads (if necessary) */
/* (d1,vc1,d0,vc0)=(9,0,0,1) */
_v_add_co_u32 v4, vcc, v0, 1                       // coord0.1: coord0 += d0*sg0*VW + vc0
_v_add_lshl_u32 v6, v3, v4, 0x3                    // scaleToBpe: accumulate d0 lower and *= bpe into Cin addr
_buffer_load_b64 v[10:11], v6, s[sgprSrdD:sgprSrdD+3], 0, offen offset:0 // load D (atomic) bpm=8 vaw=1
v_accvgpr_read_b32 v[vgprValuC+12], acc74 // copy acc to vreg[74]
v_accvgpr_read_b32 v[vgprValuC+13], acc75 // copy acc to vreg[75]
s_nop 1                                            // 2 wait states required before reading vgpr

/* rC *= alpha batchElements=[(9, 0, 0, 1)] */
v_mul_f64 v[vgprValuC+12:vgprValuC+12+1], s[sgprAlpha:sgprAlpha+1], v[vgprValuC+12:vgprValuC+12+1] // *= alpha
s_waitcnt vmcnt(0)                                 // wait C (atomic)

/* issue first atomic writes */
v_add_f64 v[8:9], v[10:11], v[vgprValuC+12:vgprValuC+12+1] // desired value
_buffer_atomic_cmpswap_b64 v[8:11], v6, s[sgprSrdD:sgprSrdD+3] 0 offen offset:0 glc   // attempt write
s_waitcnt vmcnt(0)                                 // wait for atomic writes

/* check success of writes, update masks */
v_cmp_ne_u64 s[46:47], v[8:9], v[10:11]            // c read during atomic != c read during prior load

/* or masks to check for exit */
s_mov_b64 s[42:43], 0x0                            // empty mask
s_or_b64 s[42:43], s[46:47], s[42:43]              // or to add threads
s_or_saveexec_b64 s[44:45], s[42:43]               // apply combined mask
s_cbranch_execz label_0118                         // if exec is zero skip loop

/* atomic CAS loop */
label_0117:

/* apply updated masks and issue writes again */
s_mov_b64 exec, s[46:47]                           // must try again
v_mov_b32 v10, v8                                  // dataV+2 = tmp (new original C)
v_mov_b32 v11, v9                                  // dataV+3 = tmp (new original C)
v_add_f64 v[8:9], v[10:11], v[vgprValuC+12:vgprValuC+12+1] // newC = rC + originalC
_buffer_atomic_cmpswap_b64 v[8:11], v6, s[sgprSrdD:sgprSrdD+3] 0 offen offset:0 glc   // attempt write
s_waitcnt vmcnt(0)                                 // wait for atomic writes

/* apply masks and check for success */
s_mov_b64 exec, s[46:47]                           // must try again
v_cmp_ne_u64 s[42:43], v[8:9], v[10:11]            // c read during atomic != c read during prior load
s_and_b64 s[46:47], s[42:43], s[46:47]             // inBounds & must try again

/* or masks to check for exit */
s_mov_b64 s[42:43], 0x0                            // empty mask
s_or_b64 s[42:43], s[46:47], s[42:43]              // or to add threads
s_or_saveexec_b64 s[44:45], s[42:43]               // apply combined mask
s_cbranch_execnz label_0117                        // try again if not complete
label_0118:
s_mov_b64 exec, -1                                 // full mask -> exec
s_nop 0                                            // 1 wait state required when next inst writes vgprs held by previous dwordx4 store inst
/* optSingleColVgpr=0 optSharedColVgpr=0 optSGPRUsage=None optSrdIncForRow=0 */

/******************************************/
/* Global Write Alpha Batch #38 (d1,d0,vc1,vc0) = */
/*    (9,1,0,0:vw1:vaw:1)                 */
/******************************************/

/* calc coords, apply mask, and issue loads (if necessary) */
/* (d1,vc1,d0,vc0)=(9,0,1,0) */
_v_add_co_u32 v4, vcc, v0, 64                      // coord0.1: coord0 += d0*sg0*VW + vc0
_v_add_lshl_u32 v6, v3, v4, 0x3                    // scaleToBpe: accumulate d0 lower and *= bpe into Cin addr
_buffer_load_b64 v[10:11], v6, s[sgprSrdD:sgprSrdD+3], 0, offen offset:0 // load D (atomic) bpm=8 vaw=1
v_accvgpr_read_b32 v[vgprValuC+12], acc82 // copy acc to vreg[76]
v_accvgpr_read_b32 v[vgprValuC+13], acc83 // copy acc to vreg[77]
s_nop 1                                            // 2 wait states required before reading vgpr

/* rC *= alpha batchElements=[(9, 1, 0, 0)] */
v_mul_f64 v[vgprValuC+12:vgprValuC+12+1], s[sgprAlpha:sgprAlpha+1], v[vgprValuC+12:vgprValuC+12+1] // *= alpha
s_waitcnt vmcnt(0)                                 // wait C (atomic)

/* issue first atomic writes */
v_add_f64 v[8:9], v[10:11], v[vgprValuC+12:vgprValuC+12+1] // desired value
_buffer_atomic_cmpswap_b64 v[8:11], v6, s[sgprSrdD:sgprSrdD+3] 0 offen offset:0 glc   // attempt write
s_waitcnt vmcnt(0)                                 // wait for atomic writes

/* check success of writes, update masks */
v_cmp_ne_u64 s[46:47], v[8:9], v[10:11]            // c read during atomic != c read during prior load

/* or masks to check for exit */
s_mov_b64 s[42:43], 0x0                            // empty mask
s_or_b64 s[42:43], s[46:47], s[42:43]              // or to add threads
s_or_saveexec_b64 s[44:45], s[42:43]               // apply combined mask
s_cbranch_execz label_0120                         // if exec is zero skip loop

/* atomic CAS loop */
label_0119:

/* apply updated masks and issue writes again */
s_mov_b64 exec, s[46:47]                           // must try again
v_mov_b32 v10, v8                                  // dataV+2 = tmp (new original C)
v_mov_b32 v11, v9                                  // dataV+3 = tmp (new original C)
v_add_f64 v[8:9], v[10:11], v[vgprValuC+12:vgprValuC+12+1] // newC = rC + originalC
_buffer_atomic_cmpswap_b64 v[8:11], v6, s[sgprSrdD:sgprSrdD+3] 0 offen offset:0 glc   // attempt write
s_waitcnt vmcnt(0)                                 // wait for atomic writes

/* apply masks and check for success */
s_mov_b64 exec, s[46:47]                           // must try again
v_cmp_ne_u64 s[42:43], v[8:9], v[10:11]            // c read during atomic != c read during prior load
s_and_b64 s[46:47], s[42:43], s[46:47]             // inBounds & must try again

/* or masks to check for exit */
s_mov_b64 s[42:43], 0x0                            // empty mask
s_or_b64 s[42:43], s[46:47], s[42:43]              // or to add threads
s_or_saveexec_b64 s[44:45], s[42:43]               // apply combined mask
s_cbranch_execnz label_0119                        // try again if not complete
label_0120:
s_mov_b64 exec, -1                                 // full mask -> exec
s_nop 0                                            // 1 wait state required when next inst writes vgprs held by previous dwordx4 store inst
/* optSingleColVgpr=0 optSharedColVgpr=0 optSGPRUsage=None optSrdIncForRow=0 */

/******************************************/
/* Global Write Alpha Batch #39 (d1,d0,vc1,vc0) = */
/*    (9,1,0,1:vw1:vaw:1)                 */
/******************************************/

/* calc coords, apply mask, and issue loads (if necessary) */
/* (d1,vc1,d0,vc0)=(9,0,1,1) */
s_mov_b32 s42, 65                                  // coordOffset0 d0=1 vc0=1
_v_add_co_u32 v4, vcc, v0, s42                     // coord0.2: coord0 += d0*sg0*VW + vc0
_v_add_lshl_u32 v6, v3, v4, 0x3                    // scaleToBpe: accumulate d0 lower and *= bpe into Cin addr
_buffer_load_b64 v[10:11], v6, s[sgprSrdD:sgprSrdD+3], 0, offen offset:0 // load D (atomic) bpm=8 vaw=1
v_accvgpr_read_b32 v[vgprValuC+12], acc90 // copy acc to vreg[78]
v_accvgpr_read_b32 v[vgprValuC+13], acc91 // copy acc to vreg[79]
s_nop 1                                            // 2 wait states required before reading vgpr

/* rC *= alpha batchElements=[(9, 1, 0, 1)] */
v_mul_f64 v[vgprValuC+12:vgprValuC+12+1], s[sgprAlpha:sgprAlpha+1], v[vgprValuC+12:vgprValuC+12+1] // *= alpha
s_waitcnt vmcnt(0)                                 // wait C (atomic)

/* issue first atomic writes */
v_add_f64 v[8:9], v[10:11], v[vgprValuC+12:vgprValuC+12+1] // desired value
_buffer_atomic_cmpswap_b64 v[8:11], v6, s[sgprSrdD:sgprSrdD+3] 0 offen offset:0 glc   // attempt write
s_waitcnt vmcnt(0)                                 // wait for atomic writes

/* check success of writes, update masks */
v_cmp_ne_u64 s[46:47], v[8:9], v[10:11]            // c read during atomic != c read during prior load

/* or masks to check for exit */
s_mov_b64 s[42:43], 0x0                            // empty mask
s_or_b64 s[42:43], s[46:47], s[42:43]              // or to add threads
s_or_saveexec_b64 s[44:45], s[42:43]               // apply combined mask
s_cbranch_execz label_0122                         // if exec is zero skip loop

/* atomic CAS loop */
label_0121:

/* apply updated masks and issue writes again */
s_mov_b64 exec, s[46:47]                           // must try again
v_mov_b32 v10, v8                                  // dataV+2 = tmp (new original C)
v_mov_b32 v11, v9                                  // dataV+3 = tmp (new original C)
v_add_f64 v[8:9], v[10:11], v[vgprValuC+12:vgprValuC+12+1] // newC = rC + originalC
_buffer_atomic_cmpswap_b64 v[8:11], v6, s[sgprSrdD:sgprSrdD+3] 0 offen offset:0 glc   // attempt write
s_waitcnt vmcnt(0)                                 // wait for atomic writes

/* apply masks and check for success */
s_mov_b64 exec, s[46:47]                           // must try again
v_cmp_ne_u64 s[42:43], v[8:9], v[10:11]            // c read during atomic != c read during prior load
s_and_b64 s[46:47], s[42:43], s[46:47]             // inBounds & must try again

/* or masks to check for exit */
s_mov_b64 s[42:43], 0x0                            // empty mask
s_or_b64 s[42:43], s[46:47], s[42:43]              // or to add threads
s_or_saveexec_b64 s[44:45], s[42:43]               // apply combined mask
s_cbranch_execnz label_0121                        // try again if not complete
label_0122:
s_mov_b64 exec, -1                                 // full mask -> exec
s_nop 0                                            // 1 wait state required when next inst writes vgprs held by previous dwordx4 store inst
/* optSingleColVgpr=0 optSharedColVgpr=0 optSGPRUsage=None optSrdIncForRow=0 */

/******************************************/
/* Global Write Alpha Batch #40 (d1,d0,vc1,vc0) = */
/*    (10,0,0,0:vw1:vaw:1)                */
/******************************************/

/* calc coords, apply mask, and issue loads (if necessary) */
/* (d1,vc1,d0,vc0)=(10,0,0,0) */

/* Fix for UseInitialStridesCD, emitAddressSetupCode */
s_mul_i32 s42, s[sgprStrideC1J], 4                 // scale stride
_v_add_u32 v2, v2, s42                             // ROWINC- Move cinRowPtr to next row
s_mul_i32 s42, s[sgprStrideD1J], 4                 // scale stride
_v_add_u32 v3, v3, s42                             // Move coutRowPtr to next row
_v_add_lshl_u32 v6, v3, v0, 0x3                    // scaleToBpe: accumulate d0 lower and *= bpe into Cin addr
_buffer_load_b64 v[10:11], v6, s[sgprSrdD:sgprSrdD+3], 0, offen offset:0 // load D (atomic) bpm=8 vaw=1
v_accvgpr_read_b32 v[vgprValuC+12], acc68 // copy acc to vreg[80]
v_accvgpr_read_b32 v[vgprValuC+13], acc69 // copy acc to vreg[81]
s_nop 1                                            // 2 wait states required before reading vgpr

/* rC *= alpha batchElements=[(10, 0, 0, 0)] */
v_mul_f64 v[vgprValuC+12:vgprValuC+12+1], s[sgprAlpha:sgprAlpha+1], v[vgprValuC+12:vgprValuC+12+1] // *= alpha
s_waitcnt vmcnt(0)                                 // wait C (atomic)

/* issue first atomic writes */
v_add_f64 v[8:9], v[10:11], v[vgprValuC+12:vgprValuC+12+1] // desired value
_buffer_atomic_cmpswap_b64 v[8:11], v6, s[sgprSrdD:sgprSrdD+3] 0 offen offset:0 glc   // attempt write
s_waitcnt vmcnt(0)                                 // wait for atomic writes

/* check success of writes, update masks */
v_cmp_ne_u64 s[46:47], v[8:9], v[10:11]            // c read during atomic != c read during prior load

/* or masks to check for exit */
s_mov_b64 s[42:43], 0x0                            // empty mask
s_or_b64 s[42:43], s[46:47], s[42:43]              // or to add threads
s_or_saveexec_b64 s[44:45], s[42:43]               // apply combined mask
s_cbranch_execz label_0124                         // if exec is zero skip loop

/* atomic CAS loop */
label_0123:

/* apply updated masks and issue writes again */
s_mov_b64 exec, s[46:47]                           // must try again
v_mov_b32 v10, v8                                  // dataV+2 = tmp (new original C)
v_mov_b32 v11, v9                                  // dataV+3 = tmp (new original C)
v_add_f64 v[8:9], v[10:11], v[vgprValuC+12:vgprValuC+12+1] // newC = rC + originalC
_buffer_atomic_cmpswap_b64 v[8:11], v6, s[sgprSrdD:sgprSrdD+3] 0 offen offset:0 glc   // attempt write
s_waitcnt vmcnt(0)                                 // wait for atomic writes

/* apply masks and check for success */
s_mov_b64 exec, s[46:47]                           // must try again
v_cmp_ne_u64 s[42:43], v[8:9], v[10:11]            // c read during atomic != c read during prior load
s_and_b64 s[46:47], s[42:43], s[46:47]             // inBounds & must try again

/* or masks to check for exit */
s_mov_b64 s[42:43], 0x0                            // empty mask
s_or_b64 s[42:43], s[46:47], s[42:43]              // or to add threads
s_or_saveexec_b64 s[44:45], s[42:43]               // apply combined mask
s_cbranch_execnz label_0123                        // try again if not complete
label_0124:
s_mov_b64 exec, -1                                 // full mask -> exec
s_nop 0                                            // 1 wait state required when next inst writes vgprs held by previous dwordx4 store inst
/* optSingleColVgpr=0 optSharedColVgpr=0 optSGPRUsage=None optSrdIncForRow=0 */

/******************************************/
/* Global Write Alpha Batch #41 (d1,d0,vc1,vc0) = */
/*    (10,0,0,1:vw1:vaw:1)                */
/******************************************/

/* calc coords, apply mask, and issue loads (if necessary) */
/* (d1,vc1,d0,vc0)=(10,0,0,1) */
_v_add_co_u32 v4, vcc, v0, 1                       // coord0.1: coord0 += d0*sg0*VW + vc0
_v_add_lshl_u32 v6, v3, v4, 0x3                    // scaleToBpe: accumulate d0 lower and *= bpe into Cin addr
_buffer_load_b64 v[10:11], v6, s[sgprSrdD:sgprSrdD+3], 0, offen offset:0 // load D (atomic) bpm=8 vaw=1
v_accvgpr_read_b32 v[vgprValuC+12], acc76 // copy acc to vreg[82]
v_accvgpr_read_b32 v[vgprValuC+13], acc77 // copy acc to vreg[83]
s_nop 1                                            // 2 wait states required before reading vgpr

/* rC *= alpha batchElements=[(10, 0, 0, 1)] */
v_mul_f64 v[vgprValuC+12:vgprValuC+12+1], s[sgprAlpha:sgprAlpha+1], v[vgprValuC+12:vgprValuC+12+1] // *= alpha
s_waitcnt vmcnt(0)                                 // wait C (atomic)

/* issue first atomic writes */
v_add_f64 v[8:9], v[10:11], v[vgprValuC+12:vgprValuC+12+1] // desired value
_buffer_atomic_cmpswap_b64 v[8:11], v6, s[sgprSrdD:sgprSrdD+3] 0 offen offset:0 glc   // attempt write
s_waitcnt vmcnt(0)                                 // wait for atomic writes

/* check success of writes, update masks */
v_cmp_ne_u64 s[46:47], v[8:9], v[10:11]            // c read during atomic != c read during prior load

/* or masks to check for exit */
s_mov_b64 s[42:43], 0x0                            // empty mask
s_or_b64 s[42:43], s[46:47], s[42:43]              // or to add threads
s_or_saveexec_b64 s[44:45], s[42:43]               // apply combined mask
s_cbranch_execz label_0126                         // if exec is zero skip loop

/* atomic CAS loop */
label_0125:

/* apply updated masks and issue writes again */
s_mov_b64 exec, s[46:47]                           // must try again
v_mov_b32 v10, v8                                  // dataV+2 = tmp (new original C)
v_mov_b32 v11, v9                                  // dataV+3 = tmp (new original C)
v_add_f64 v[8:9], v[10:11], v[vgprValuC+12:vgprValuC+12+1] // newC = rC + originalC
_buffer_atomic_cmpswap_b64 v[8:11], v6, s[sgprSrdD:sgprSrdD+3] 0 offen offset:0 glc   // attempt write
s_waitcnt vmcnt(0)                                 // wait for atomic writes

/* apply masks and check for success */
s_mov_b64 exec, s[46:47]                           // must try again
v_cmp_ne_u64 s[42:43], v[8:9], v[10:11]            // c read during atomic != c read during prior load
s_and_b64 s[46:47], s[42:43], s[46:47]             // inBounds & must try again

/* or masks to check for exit */
s_mov_b64 s[42:43], 0x0                            // empty mask
s_or_b64 s[42:43], s[46:47], s[42:43]              // or to add threads
s_or_saveexec_b64 s[44:45], s[42:43]               // apply combined mask
s_cbranch_execnz label_0125                        // try again if not complete
label_0126:
s_mov_b64 exec, -1                                 // full mask -> exec
s_nop 0                                            // 1 wait state required when next inst writes vgprs held by previous dwordx4 store inst
/* optSingleColVgpr=0 optSharedColVgpr=0 optSGPRUsage=None optSrdIncForRow=0 */

/******************************************/
/* Global Write Alpha Batch #42 (d1,d0,vc1,vc0) = */
/*    (10,1,0,0:vw1:vaw:1)                */
/******************************************/

/* calc coords, apply mask, and issue loads (if necessary) */
/* (d1,vc1,d0,vc0)=(10,0,1,0) */
_v_add_co_u32 v4, vcc, v0, 64                      // coord0.1: coord0 += d0*sg0*VW + vc0
_v_add_lshl_u32 v6, v3, v4, 0x3                    // scaleToBpe: accumulate d0 lower and *= bpe into Cin addr
_buffer_load_b64 v[10:11], v6, s[sgprSrdD:sgprSrdD+3], 0, offen offset:0 // load D (atomic) bpm=8 vaw=1
v_accvgpr_read_b32 v[vgprValuC+12], acc84 // copy acc to vreg[84]
v_accvgpr_read_b32 v[vgprValuC+13], acc85 // copy acc to vreg[85]
s_nop 1                                            // 2 wait states required before reading vgpr

/* rC *= alpha batchElements=[(10, 1, 0, 0)] */
v_mul_f64 v[vgprValuC+12:vgprValuC+12+1], s[sgprAlpha:sgprAlpha+1], v[vgprValuC+12:vgprValuC+12+1] // *= alpha
s_waitcnt vmcnt(0)                                 // wait C (atomic)

/* issue first atomic writes */
v_add_f64 v[8:9], v[10:11], v[vgprValuC+12:vgprValuC+12+1] // desired value
_buffer_atomic_cmpswap_b64 v[8:11], v6, s[sgprSrdD:sgprSrdD+3] 0 offen offset:0 glc   // attempt write
s_waitcnt vmcnt(0)                                 // wait for atomic writes

/* check success of writes, update masks */
v_cmp_ne_u64 s[46:47], v[8:9], v[10:11]            // c read during atomic != c read during prior load

/* or masks to check for exit */
s_mov_b64 s[42:43], 0x0                            // empty mask
s_or_b64 s[42:43], s[46:47], s[42:43]              // or to add threads
s_or_saveexec_b64 s[44:45], s[42:43]               // apply combined mask
s_cbranch_execz label_0128                         // if exec is zero skip loop

/* atomic CAS loop */
label_0127:

/* apply updated masks and issue writes again */
s_mov_b64 exec, s[46:47]                           // must try again
v_mov_b32 v10, v8                                  // dataV+2 = tmp (new original C)
v_mov_b32 v11, v9                                  // dataV+3 = tmp (new original C)
v_add_f64 v[8:9], v[10:11], v[vgprValuC+12:vgprValuC+12+1] // newC = rC + originalC
_buffer_atomic_cmpswap_b64 v[8:11], v6, s[sgprSrdD:sgprSrdD+3] 0 offen offset:0 glc   // attempt write
s_waitcnt vmcnt(0)                                 // wait for atomic writes

/* apply masks and check for success */
s_mov_b64 exec, s[46:47]                           // must try again
v_cmp_ne_u64 s[42:43], v[8:9], v[10:11]            // c read during atomic != c read during prior load
s_and_b64 s[46:47], s[42:43], s[46:47]             // inBounds & must try again

/* or masks to check for exit */
s_mov_b64 s[42:43], 0x0                            // empty mask
s_or_b64 s[42:43], s[46:47], s[42:43]              // or to add threads
s_or_saveexec_b64 s[44:45], s[42:43]               // apply combined mask
s_cbranch_execnz label_0127                        // try again if not complete
label_0128:
s_mov_b64 exec, -1                                 // full mask -> exec
s_nop 0                                            // 1 wait state required when next inst writes vgprs held by previous dwordx4 store inst
/* optSingleColVgpr=0 optSharedColVgpr=0 optSGPRUsage=None optSrdIncForRow=0 */

/******************************************/
/* Global Write Alpha Batch #43 (d1,d0,vc1,vc0) = */
/*    (10,1,0,1:vw1:vaw:1)                */
/******************************************/

/* calc coords, apply mask, and issue loads (if necessary) */
/* (d1,vc1,d0,vc0)=(10,0,1,1) */
s_mov_b32 s42, 65                                  // coordOffset0 d0=1 vc0=1
_v_add_co_u32 v4, vcc, v0, s42                     // coord0.2: coord0 += d0*sg0*VW + vc0
_v_add_lshl_u32 v6, v3, v4, 0x3                    // scaleToBpe: accumulate d0 lower and *= bpe into Cin addr
_buffer_load_b64 v[10:11], v6, s[sgprSrdD:sgprSrdD+3], 0, offen offset:0 // load D (atomic) bpm=8 vaw=1
v_accvgpr_read_b32 v[vgprValuC+12], acc92 // copy acc to vreg[86]
v_accvgpr_read_b32 v[vgprValuC+13], acc93 // copy acc to vreg[87]
s_nop 1                                            // 2 wait states required before reading vgpr

/* rC *= alpha batchElements=[(10, 1, 0, 1)] */
v_mul_f64 v[vgprValuC+12:vgprValuC+12+1], s[sgprAlpha:sgprAlpha+1], v[vgprValuC+12:vgprValuC+12+1] // *= alpha
s_waitcnt vmcnt(0)                                 // wait C (atomic)

/* issue first atomic writes */
v_add_f64 v[8:9], v[10:11], v[vgprValuC+12:vgprValuC+12+1] // desired value
_buffer_atomic_cmpswap_b64 v[8:11], v6, s[sgprSrdD:sgprSrdD+3] 0 offen offset:0 glc   // attempt write
s_waitcnt vmcnt(0)                                 // wait for atomic writes

/* check success of writes, update masks */
v_cmp_ne_u64 s[46:47], v[8:9], v[10:11]            // c read during atomic != c read during prior load

/* or masks to check for exit */
s_mov_b64 s[42:43], 0x0                            // empty mask
s_or_b64 s[42:43], s[46:47], s[42:43]              // or to add threads
s_or_saveexec_b64 s[44:45], s[42:43]               // apply combined mask
s_cbranch_execz label_0130                         // if exec is zero skip loop

/* atomic CAS loop */
label_0129:

/* apply updated masks and issue writes again */
s_mov_b64 exec, s[46:47]                           // must try again
v_mov_b32 v10, v8                                  // dataV+2 = tmp (new original C)
v_mov_b32 v11, v9                                  // dataV+3 = tmp (new original C)
v_add_f64 v[8:9], v[10:11], v[vgprValuC+12:vgprValuC+12+1] // newC = rC + originalC
_buffer_atomic_cmpswap_b64 v[8:11], v6, s[sgprSrdD:sgprSrdD+3] 0 offen offset:0 glc   // attempt write
s_waitcnt vmcnt(0)                                 // wait for atomic writes

/* apply masks and check for success */
s_mov_b64 exec, s[46:47]                           // must try again
v_cmp_ne_u64 s[42:43], v[8:9], v[10:11]            // c read during atomic != c read during prior load
s_and_b64 s[46:47], s[42:43], s[46:47]             // inBounds & must try again

/* or masks to check for exit */
s_mov_b64 s[42:43], 0x0                            // empty mask
s_or_b64 s[42:43], s[46:47], s[42:43]              // or to add threads
s_or_saveexec_b64 s[44:45], s[42:43]               // apply combined mask
s_cbranch_execnz label_0129                        // try again if not complete
label_0130:
s_mov_b64 exec, -1                                 // full mask -> exec
s_nop 0                                            // 1 wait state required when next inst writes vgprs held by previous dwordx4 store inst
/* optSingleColVgpr=0 optSharedColVgpr=0 optSGPRUsage=None optSrdIncForRow=0 */

/******************************************/
/* Global Write Alpha Batch #44 (d1,d0,vc1,vc0) = */
/*    (11,0,0,0:vw1:vaw:1)                */
/******************************************/

/* calc coords, apply mask, and issue loads (if necessary) */
/* (d1,vc1,d0,vc0)=(11,0,0,0) */

/* Fix for UseInitialStridesCD, emitAddressSetupCode */
s_mul_i32 s42, s[sgprStrideC1J], 4                 // scale stride
_v_add_u32 v2, v2, s42                             // ROWINC- Move cinRowPtr to next row
s_mul_i32 s42, s[sgprStrideD1J], 4                 // scale stride
_v_add_u32 v3, v3, s42                             // Move coutRowPtr to next row
_v_add_lshl_u32 v6, v3, v0, 0x3                    // scaleToBpe: accumulate d0 lower and *= bpe into Cin addr
_buffer_load_b64 v[10:11], v6, s[sgprSrdD:sgprSrdD+3], 0, offen offset:0 // load D (atomic) bpm=8 vaw=1
v_accvgpr_read_b32 v[vgprValuC+12], acc70 // copy acc to vreg[88]
v_accvgpr_read_b32 v[vgprValuC+13], acc71 // copy acc to vreg[89]
s_nop 1                                            // 2 wait states required before reading vgpr

/* rC *= alpha batchElements=[(11, 0, 0, 0)] */
v_mul_f64 v[vgprValuC+12:vgprValuC+12+1], s[sgprAlpha:sgprAlpha+1], v[vgprValuC+12:vgprValuC+12+1] // *= alpha
s_waitcnt vmcnt(0)                                 // wait C (atomic)

/* issue first atomic writes */
v_add_f64 v[8:9], v[10:11], v[vgprValuC+12:vgprValuC+12+1] // desired value
_buffer_atomic_cmpswap_b64 v[8:11], v6, s[sgprSrdD:sgprSrdD+3] 0 offen offset:0 glc   // attempt write
s_waitcnt vmcnt(0)                                 // wait for atomic writes

/* check success of writes, update masks */
v_cmp_ne_u64 s[46:47], v[8:9], v[10:11]            // c read during atomic != c read during prior load

/* or masks to check for exit */
s_mov_b64 s[42:43], 0x0                            // empty mask
s_or_b64 s[42:43], s[46:47], s[42:43]              // or to add threads
s_or_saveexec_b64 s[44:45], s[42:43]               // apply combined mask
s_cbranch_execz label_0132                         // if exec is zero skip loop

/* atomic CAS loop */
label_0131:

/* apply updated masks and issue writes again */
s_mov_b64 exec, s[46:47]                           // must try again
v_mov_b32 v10, v8                                  // dataV+2 = tmp (new original C)
v_mov_b32 v11, v9                                  // dataV+3 = tmp (new original C)
v_add_f64 v[8:9], v[10:11], v[vgprValuC+12:vgprValuC+12+1] // newC = rC + originalC
_buffer_atomic_cmpswap_b64 v[8:11], v6, s[sgprSrdD:sgprSrdD+3] 0 offen offset:0 glc   // attempt write
s_waitcnt vmcnt(0)                                 // wait for atomic writes

/* apply masks and check for success */
s_mov_b64 exec, s[46:47]                           // must try again
v_cmp_ne_u64 s[42:43], v[8:9], v[10:11]            // c read during atomic != c read during prior load
s_and_b64 s[46:47], s[42:43], s[46:47]             // inBounds & must try again

/* or masks to check for exit */
s_mov_b64 s[42:43], 0x0                            // empty mask
s_or_b64 s[42:43], s[46:47], s[42:43]              // or to add threads
s_or_saveexec_b64 s[44:45], s[42:43]               // apply combined mask
s_cbranch_execnz label_0131                        // try again if not complete
label_0132:
s_mov_b64 exec, -1                                 // full mask -> exec
s_nop 0                                            // 1 wait state required when next inst writes vgprs held by previous dwordx4 store inst
/* optSingleColVgpr=0 optSharedColVgpr=0 optSGPRUsage=None optSrdIncForRow=0 */

/******************************************/
/* Global Write Alpha Batch #45 (d1,d0,vc1,vc0) = */
/*    (11,0,0,1:vw1:vaw:1)                */
/******************************************/

/* calc coords, apply mask, and issue loads (if necessary) */
/* (d1,vc1,d0,vc0)=(11,0,0,1) */
_v_add_co_u32 v4, vcc, v0, 1                       // coord0.1: coord0 += d0*sg0*VW + vc0
_v_add_lshl_u32 v6, v3, v4, 0x3                    // scaleToBpe: accumulate d0 lower and *= bpe into Cin addr
_buffer_load_b64 v[10:11], v6, s[sgprSrdD:sgprSrdD+3], 0, offen offset:0 // load D (atomic) bpm=8 vaw=1
v_accvgpr_read_b32 v[vgprValuC+12], acc78 // copy acc to vreg[90]
v_accvgpr_read_b32 v[vgprValuC+13], acc79 // copy acc to vreg[91]
s_nop 1                                            // 2 wait states required before reading vgpr

/* rC *= alpha batchElements=[(11, 0, 0, 1)] */
v_mul_f64 v[vgprValuC+12:vgprValuC+12+1], s[sgprAlpha:sgprAlpha+1], v[vgprValuC+12:vgprValuC+12+1] // *= alpha
s_waitcnt vmcnt(0)                                 // wait C (atomic)

/* issue first atomic writes */
v_add_f64 v[8:9], v[10:11], v[vgprValuC+12:vgprValuC+12+1] // desired value
_buffer_atomic_cmpswap_b64 v[8:11], v6, s[sgprSrdD:sgprSrdD+3] 0 offen offset:0 glc   // attempt write
s_waitcnt vmcnt(0)                                 // wait for atomic writes

/* check success of writes, update masks */
v_cmp_ne_u64 s[46:47], v[8:9], v[10:11]            // c read during atomic != c read during prior load

/* or masks to check for exit */
s_mov_b64 s[42:43], 0x0                            // empty mask
s_or_b64 s[42:43], s[46:47], s[42:43]              // or to add threads
s_or_saveexec_b64 s[44:45], s[42:43]               // apply combined mask
s_cbranch_execz label_0134                         // if exec is zero skip loop

/* atomic CAS loop */
label_0133:

/* apply updated masks and issue writes again */
s_mov_b64 exec, s[46:47]                           // must try again
v_mov_b32 v10, v8                                  // dataV+2 = tmp (new original C)
v_mov_b32 v11, v9                                  // dataV+3 = tmp (new original C)
v_add_f64 v[8:9], v[10:11], v[vgprValuC+12:vgprValuC+12+1] // newC = rC + originalC
_buffer_atomic_cmpswap_b64 v[8:11], v6, s[sgprSrdD:sgprSrdD+3] 0 offen offset:0 glc   // attempt write
s_waitcnt vmcnt(0)                                 // wait for atomic writes

/* apply masks and check for success */
s_mov_b64 exec, s[46:47]                           // must try again
v_cmp_ne_u64 s[42:43], v[8:9], v[10:11]            // c read during atomic != c read during prior load
s_and_b64 s[46:47], s[42:43], s[46:47]             // inBounds & must try again

/* or masks to check for exit */
s_mov_b64 s[42:43], 0x0                            // empty mask
s_or_b64 s[42:43], s[46:47], s[42:43]              // or to add threads
s_or_saveexec_b64 s[44:45], s[42:43]               // apply combined mask
s_cbranch_execnz label_0133                        // try again if not complete
label_0134:
s_mov_b64 exec, -1                                 // full mask -> exec
s_nop 0                                            // 1 wait state required when next inst writes vgprs held by previous dwordx4 store inst
/* optSingleColVgpr=0 optSharedColVgpr=0 optSGPRUsage=None optSrdIncForRow=0 */

/******************************************/
/* Global Write Alpha Batch #46 (d1,d0,vc1,vc0) = */
/*    (11,1,0,0:vw1:vaw:1)                */
/******************************************/

/* calc coords, apply mask, and issue loads (if necessary) */
/* (d1,vc1,d0,vc0)=(11,0,1,0) */
_v_add_co_u32 v4, vcc, v0, 64                      // coord0.1: coord0 += d0*sg0*VW + vc0
_v_add_lshl_u32 v6, v3, v4, 0x3                    // scaleToBpe: accumulate d0 lower and *= bpe into Cin addr
_buffer_load_b64 v[10:11], v6, s[sgprSrdD:sgprSrdD+3], 0, offen offset:0 // load D (atomic) bpm=8 vaw=1
v_accvgpr_read_b32 v[vgprValuC+12], acc86 // copy acc to vreg[92]
v_accvgpr_read_b32 v[vgprValuC+13], acc87 // copy acc to vreg[93]
s_nop 1                                            // 2 wait states required before reading vgpr

/* rC *= alpha batchElements=[(11, 1, 0, 0)] */
v_mul_f64 v[vgprValuC+12:vgprValuC+12+1], s[sgprAlpha:sgprAlpha+1], v[vgprValuC+12:vgprValuC+12+1] // *= alpha
s_waitcnt vmcnt(0)                                 // wait C (atomic)

/* issue first atomic writes */
v_add_f64 v[8:9], v[10:11], v[vgprValuC+12:vgprValuC+12+1] // desired value
_buffer_atomic_cmpswap_b64 v[8:11], v6, s[sgprSrdD:sgprSrdD+3] 0 offen offset:0 glc   // attempt write
s_waitcnt vmcnt(0)                                 // wait for atomic writes

/* check success of writes, update masks */
v_cmp_ne_u64 s[46:47], v[8:9], v[10:11]            // c read during atomic != c read during prior load

/* or masks to check for exit */
s_mov_b64 s[42:43], 0x0                            // empty mask
s_or_b64 s[42:43], s[46:47], s[42:43]              // or to add threads
s_or_saveexec_b64 s[44:45], s[42:43]               // apply combined mask
s_cbranch_execz label_0136                         // if exec is zero skip loop

/* atomic CAS loop */
label_0135:

/* apply updated masks and issue writes again */
s_mov_b64 exec, s[46:47]                           // must try again
v_mov_b32 v10, v8                                  // dataV+2 = tmp (new original C)
v_mov_b32 v11, v9                                  // dataV+3 = tmp (new original C)
v_add_f64 v[8:9], v[10:11], v[vgprValuC+12:vgprValuC+12+1] // newC = rC + originalC
_buffer_atomic_cmpswap_b64 v[8:11], v6, s[sgprSrdD:sgprSrdD+3] 0 offen offset:0 glc   // attempt write
s_waitcnt vmcnt(0)                                 // wait for atomic writes

/* apply masks and check for success */
s_mov_b64 exec, s[46:47]                           // must try again
v_cmp_ne_u64 s[42:43], v[8:9], v[10:11]            // c read during atomic != c read during prior load
s_and_b64 s[46:47], s[42:43], s[46:47]             // inBounds & must try again

/* or masks to check for exit */
s_mov_b64 s[42:43], 0x0                            // empty mask
s_or_b64 s[42:43], s[46:47], s[42:43]              // or to add threads
s_or_saveexec_b64 s[44:45], s[42:43]               // apply combined mask
s_cbranch_execnz label_0135                        // try again if not complete
label_0136:
s_mov_b64 exec, -1                                 // full mask -> exec
s_nop 0                                            // 1 wait state required when next inst writes vgprs held by previous dwordx4 store inst
/* optSingleColVgpr=0 optSharedColVgpr=0 optSGPRUsage=None optSrdIncForRow=0 */

/******************************************/
/* Global Write Alpha Batch #47 (d1,d0,vc1,vc0) = */
/*    (11,1,0,1:vw1:vaw:1)                */
/******************************************/

/* calc coords, apply mask, and issue loads (if necessary) */
/* (d1,vc1,d0,vc0)=(11,0,1,1) */
s_mov_b32 s42, 65                                  // coordOffset0 d0=1 vc0=1
_v_add_co_u32 v4, vcc, v0, s42                     // coord0.2: coord0 += d0*sg0*VW + vc0
_v_add_lshl_u32 v6, v3, v4, 0x3                    // scaleToBpe: accumulate d0 lower and *= bpe into Cin addr
_buffer_load_b64 v[10:11], v6, s[sgprSrdD:sgprSrdD+3], 0, offen offset:0 // load D (atomic) bpm=8 vaw=1
v_accvgpr_read_b32 v[vgprValuC+12], acc94 // copy acc to vreg[94]
v_accvgpr_read_b32 v[vgprValuC+13], acc95 // copy acc to vreg[95]
s_nop 1                                            // 2 wait states required before reading vgpr

/* rC *= alpha batchElements=[(11, 1, 0, 1)] */
v_mul_f64 v[vgprValuC+12:vgprValuC+12+1], s[sgprAlpha:sgprAlpha+1], v[vgprValuC+12:vgprValuC+12+1] // *= alpha
s_waitcnt vmcnt(0)                                 // wait C (atomic)

/* issue first atomic writes */
v_add_f64 v[8:9], v[10:11], v[vgprValuC+12:vgprValuC+12+1] // desired value
_buffer_atomic_cmpswap_b64 v[8:11], v6, s[sgprSrdD:sgprSrdD+3] 0 offen offset:0 glc   // attempt write
s_waitcnt vmcnt(0)                                 // wait for atomic writes

/* check success of writes, update masks */
v_cmp_ne_u64 s[46:47], v[8:9], v[10:11]            // c read during atomic != c read during prior load

/* or masks to check for exit */
s_mov_b64 s[42:43], 0x0                            // empty mask
s_or_b64 s[42:43], s[46:47], s[42:43]              // or to add threads
s_or_saveexec_b64 s[44:45], s[42:43]               // apply combined mask
s_cbranch_execz label_0138                         // if exec is zero skip loop

/* atomic CAS loop */
label_0137:

/* apply updated masks and issue writes again */
s_mov_b64 exec, s[46:47]                           // must try again
v_mov_b32 v10, v8                                  // dataV+2 = tmp (new original C)
v_mov_b32 v11, v9                                  // dataV+3 = tmp (new original C)
v_add_f64 v[8:9], v[10:11], v[vgprValuC+12:vgprValuC+12+1] // newC = rC + originalC
_buffer_atomic_cmpswap_b64 v[8:11], v6, s[sgprSrdD:sgprSrdD+3] 0 offen offset:0 glc   // attempt write
s_waitcnt vmcnt(0)                                 // wait for atomic writes

/* apply masks and check for success */
s_mov_b64 exec, s[46:47]                           // must try again
v_cmp_ne_u64 s[42:43], v[8:9], v[10:11]            // c read during atomic != c read during prior load
s_and_b64 s[46:47], s[42:43], s[46:47]             // inBounds & must try again

/* or masks to check for exit */
s_mov_b64 s[42:43], 0x0                            // empty mask
s_or_b64 s[42:43], s[46:47], s[42:43]              // or to add threads
s_or_saveexec_b64 s[44:45], s[42:43]               // apply combined mask
s_cbranch_execnz label_0137                        // try again if not complete
label_0138:
s_mov_b64 exec, -1                                 // full mask -> exec
s_nop 0                                            // 1 wait state required when next inst writes vgprs held by previous dwordx4 store inst
/* optSingleColVgpr=0 optSharedColVgpr=0 optSGPRUsage=None optSrdIncForRow=0 */

/******************************************/
/* Global Write Alpha Batch #48 (d1,d0,vc1,vc0) = */
/*    (12,0,0,0:vw1:vaw:1)                */
/******************************************/

/* calc coords, apply mask, and issue loads (if necessary) */
/* (d1,vc1,d0,vc0)=(12,0,0,0) */

/* Fix for UseInitialStridesCD, emitAddressSetupCode */
s_mul_i32 s42, s[sgprStrideC1J], 20                // scale stride
_v_add_u32 v2, v2, s42                             // ROWINC- Move cinRowPtr to next row
s_mul_i32 s42, s[sgprStrideD1J], 20                // scale stride
_v_add_u32 v3, v3, s42                             // Move coutRowPtr to next row
_v_add_lshl_u32 v6, v3, v0, 0x3                    // scaleToBpe: accumulate d0 lower and *= bpe into Cin addr
_buffer_load_b64 v[10:11], v6, s[sgprSrdD:sgprSrdD+3], 0, offen offset:0 // load D (atomic) bpm=8 vaw=1
v_accvgpr_read_b32 v[vgprValuC+12], acc96 // copy acc to vreg[96]
v_accvgpr_read_b32 v[vgprValuC+13], acc97 // copy acc to vreg[97]
s_nop 1                                            // 2 wait states required before reading vgpr

/* rC *= alpha batchElements=[(12, 0, 0, 0)] */
v_mul_f64 v[vgprValuC+12:vgprValuC+12+1], s[sgprAlpha:sgprAlpha+1], v[vgprValuC+12:vgprValuC+12+1] // *= alpha
s_waitcnt vmcnt(0)                                 // wait C (atomic)

/* issue first atomic writes */
v_add_f64 v[8:9], v[10:11], v[vgprValuC+12:vgprValuC+12+1] // desired value
_buffer_atomic_cmpswap_b64 v[8:11], v6, s[sgprSrdD:sgprSrdD+3] 0 offen offset:0 glc   // attempt write
s_waitcnt vmcnt(0)                                 // wait for atomic writes

/* check success of writes, update masks */
v_cmp_ne_u64 s[46:47], v[8:9], v[10:11]            // c read during atomic != c read during prior load

/* or masks to check for exit */
s_mov_b64 s[42:43], 0x0                            // empty mask
s_or_b64 s[42:43], s[46:47], s[42:43]              // or to add threads
s_or_saveexec_b64 s[44:45], s[42:43]               // apply combined mask
s_cbranch_execz label_0140                         // if exec is zero skip loop

/* atomic CAS loop */
label_0139:

/* apply updated masks and issue writes again */
s_mov_b64 exec, s[46:47]                           // must try again
v_mov_b32 v10, v8                                  // dataV+2 = tmp (new original C)
v_mov_b32 v11, v9                                  // dataV+3 = tmp (new original C)
v_add_f64 v[8:9], v[10:11], v[vgprValuC+12:vgprValuC+12+1] // newC = rC + originalC
_buffer_atomic_cmpswap_b64 v[8:11], v6, s[sgprSrdD:sgprSrdD+3] 0 offen offset:0 glc   // attempt write
s_waitcnt vmcnt(0)                                 // wait for atomic writes

/* apply masks and check for success */
s_mov_b64 exec, s[46:47]                           // must try again
v_cmp_ne_u64 s[42:43], v[8:9], v[10:11]            // c read during atomic != c read during prior load
s_and_b64 s[46:47], s[42:43], s[46:47]             // inBounds & must try again

/* or masks to check for exit */
s_mov_b64 s[42:43], 0x0                            // empty mask
s_or_b64 s[42:43], s[46:47], s[42:43]              // or to add threads
s_or_saveexec_b64 s[44:45], s[42:43]               // apply combined mask
s_cbranch_execnz label_0139                        // try again if not complete
label_0140:
s_mov_b64 exec, -1                                 // full mask -> exec
s_nop 0                                            // 1 wait state required when next inst writes vgprs held by previous dwordx4 store inst
/* optSingleColVgpr=0 optSharedColVgpr=0 optSGPRUsage=None optSrdIncForRow=0 */

/******************************************/
/* Global Write Alpha Batch #49 (d1,d0,vc1,vc0) = */
/*    (12,0,0,1:vw1:vaw:1)                */
/******************************************/

/* calc coords, apply mask, and issue loads (if necessary) */
/* (d1,vc1,d0,vc0)=(12,0,0,1) */
_v_add_co_u32 v4, vcc, v0, 1                       // coord0.1: coord0 += d0*sg0*VW + vc0
_v_add_lshl_u32 v6, v3, v4, 0x3                    // scaleToBpe: accumulate d0 lower and *= bpe into Cin addr
_buffer_load_b64 v[10:11], v6, s[sgprSrdD:sgprSrdD+3], 0, offen offset:0 // load D (atomic) bpm=8 vaw=1
v_accvgpr_read_b32 v[vgprValuC+12], acc104 // copy acc to vreg[98]
v_accvgpr_read_b32 v[vgprValuC+13], acc105 // copy acc to vreg[99]
s_nop 1                                            // 2 wait states required before reading vgpr

/* rC *= alpha batchElements=[(12, 0, 0, 1)] */
v_mul_f64 v[vgprValuC+12:vgprValuC+12+1], s[sgprAlpha:sgprAlpha+1], v[vgprValuC+12:vgprValuC+12+1] // *= alpha
s_waitcnt vmcnt(0)                                 // wait C (atomic)

/* issue first atomic writes */
v_add_f64 v[8:9], v[10:11], v[vgprValuC+12:vgprValuC+12+1] // desired value
_buffer_atomic_cmpswap_b64 v[8:11], v6, s[sgprSrdD:sgprSrdD+3] 0 offen offset:0 glc   // attempt write
s_waitcnt vmcnt(0)                                 // wait for atomic writes

/* check success of writes, update masks */
v_cmp_ne_u64 s[46:47], v[8:9], v[10:11]            // c read during atomic != c read during prior load

/* or masks to check for exit */
s_mov_b64 s[42:43], 0x0                            // empty mask
s_or_b64 s[42:43], s[46:47], s[42:43]              // or to add threads
s_or_saveexec_b64 s[44:45], s[42:43]               // apply combined mask
s_cbranch_execz label_0142                         // if exec is zero skip loop

/* atomic CAS loop */
label_0141:

/* apply updated masks and issue writes again */
s_mov_b64 exec, s[46:47]                           // must try again
v_mov_b32 v10, v8                                  // dataV+2 = tmp (new original C)
v_mov_b32 v11, v9                                  // dataV+3 = tmp (new original C)
v_add_f64 v[8:9], v[10:11], v[vgprValuC+12:vgprValuC+12+1] // newC = rC + originalC
_buffer_atomic_cmpswap_b64 v[8:11], v6, s[sgprSrdD:sgprSrdD+3] 0 offen offset:0 glc   // attempt write
s_waitcnt vmcnt(0)                                 // wait for atomic writes

/* apply masks and check for success */
s_mov_b64 exec, s[46:47]                           // must try again
v_cmp_ne_u64 s[42:43], v[8:9], v[10:11]            // c read during atomic != c read during prior load
s_and_b64 s[46:47], s[42:43], s[46:47]             // inBounds & must try again

/* or masks to check for exit */
s_mov_b64 s[42:43], 0x0                            // empty mask
s_or_b64 s[42:43], s[46:47], s[42:43]              // or to add threads
s_or_saveexec_b64 s[44:45], s[42:43]               // apply combined mask
s_cbranch_execnz label_0141                        // try again if not complete
label_0142:
s_mov_b64 exec, -1                                 // full mask -> exec
s_nop 0                                            // 1 wait state required when next inst writes vgprs held by previous dwordx4 store inst
/* optSingleColVgpr=0 optSharedColVgpr=0 optSGPRUsage=None optSrdIncForRow=0 */

/******************************************/
/* Global Write Alpha Batch #50 (d1,d0,vc1,vc0) = */
/*    (12,1,0,0:vw1:vaw:1)                */
/******************************************/

/* calc coords, apply mask, and issue loads (if necessary) */
/* (d1,vc1,d0,vc0)=(12,0,1,0) */
_v_add_co_u32 v4, vcc, v0, 64                      // coord0.1: coord0 += d0*sg0*VW + vc0
_v_add_lshl_u32 v6, v3, v4, 0x3                    // scaleToBpe: accumulate d0 lower and *= bpe into Cin addr
_buffer_load_b64 v[10:11], v6, s[sgprSrdD:sgprSrdD+3], 0, offen offset:0 // load D (atomic) bpm=8 vaw=1
v_accvgpr_read_b32 v[vgprValuC+12], acc112 // copy acc to vreg[100]
v_accvgpr_read_b32 v[vgprValuC+13], acc113 // copy acc to vreg[101]
s_nop 1                                            // 2 wait states required before reading vgpr

/* rC *= alpha batchElements=[(12, 1, 0, 0)] */
v_mul_f64 v[vgprValuC+12:vgprValuC+12+1], s[sgprAlpha:sgprAlpha+1], v[vgprValuC+12:vgprValuC+12+1] // *= alpha
s_waitcnt vmcnt(0)                                 // wait C (atomic)

/* issue first atomic writes */
v_add_f64 v[8:9], v[10:11], v[vgprValuC+12:vgprValuC+12+1] // desired value
_buffer_atomic_cmpswap_b64 v[8:11], v6, s[sgprSrdD:sgprSrdD+3] 0 offen offset:0 glc   // attempt write
s_waitcnt vmcnt(0)                                 // wait for atomic writes

/* check success of writes, update masks */
v_cmp_ne_u64 s[46:47], v[8:9], v[10:11]            // c read during atomic != c read during prior load

/* or masks to check for exit */
s_mov_b64 s[42:43], 0x0                            // empty mask
s_or_b64 s[42:43], s[46:47], s[42:43]              // or to add threads
s_or_saveexec_b64 s[44:45], s[42:43]               // apply combined mask
s_cbranch_execz label_0144                         // if exec is zero skip loop

/* atomic CAS loop */
label_0143:

/* apply updated masks and issue writes again */
s_mov_b64 exec, s[46:47]                           // must try again
v_mov_b32 v10, v8                                  // dataV+2 = tmp (new original C)
v_mov_b32 v11, v9                                  // dataV+3 = tmp (new original C)
v_add_f64 v[8:9], v[10:11], v[vgprValuC+12:vgprValuC+12+1] // newC = rC + originalC
_buffer_atomic_cmpswap_b64 v[8:11], v6, s[sgprSrdD:sgprSrdD+3] 0 offen offset:0 glc   // attempt write
s_waitcnt vmcnt(0)                                 // wait for atomic writes

/* apply masks and check for success */
s_mov_b64 exec, s[46:47]                           // must try again
v_cmp_ne_u64 s[42:43], v[8:9], v[10:11]            // c read during atomic != c read during prior load
s_and_b64 s[46:47], s[42:43], s[46:47]             // inBounds & must try again

/* or masks to check for exit */
s_mov_b64 s[42:43], 0x0                            // empty mask
s_or_b64 s[42:43], s[46:47], s[42:43]              // or to add threads
s_or_saveexec_b64 s[44:45], s[42:43]               // apply combined mask
s_cbranch_execnz label_0143                        // try again if not complete
label_0144:
s_mov_b64 exec, -1                                 // full mask -> exec
s_nop 0                                            // 1 wait state required when next inst writes vgprs held by previous dwordx4 store inst
/* optSingleColVgpr=0 optSharedColVgpr=0 optSGPRUsage=None optSrdIncForRow=0 */

/******************************************/
/* Global Write Alpha Batch #51 (d1,d0,vc1,vc0) = */
/*    (12,1,0,1:vw1:vaw:1)                */
/******************************************/

/* calc coords, apply mask, and issue loads (if necessary) */
/* (d1,vc1,d0,vc0)=(12,0,1,1) */
s_mov_b32 s42, 65                                  // coordOffset0 d0=1 vc0=1
_v_add_co_u32 v4, vcc, v0, s42                     // coord0.2: coord0 += d0*sg0*VW + vc0
_v_add_lshl_u32 v6, v3, v4, 0x3                    // scaleToBpe: accumulate d0 lower and *= bpe into Cin addr
_buffer_load_b64 v[10:11], v6, s[sgprSrdD:sgprSrdD+3], 0, offen offset:0 // load D (atomic) bpm=8 vaw=1
v_accvgpr_read_b32 v[vgprValuC+12], acc120 // copy acc to vreg[102]
v_accvgpr_read_b32 v[vgprValuC+13], acc121 // copy acc to vreg[103]
s_nop 1                                            // 2 wait states required before reading vgpr

/* rC *= alpha batchElements=[(12, 1, 0, 1)] */
v_mul_f64 v[vgprValuC+12:vgprValuC+12+1], s[sgprAlpha:sgprAlpha+1], v[vgprValuC+12:vgprValuC+12+1] // *= alpha
s_waitcnt vmcnt(0)                                 // wait C (atomic)

/* issue first atomic writes */
v_add_f64 v[8:9], v[10:11], v[vgprValuC+12:vgprValuC+12+1] // desired value
_buffer_atomic_cmpswap_b64 v[8:11], v6, s[sgprSrdD:sgprSrdD+3] 0 offen offset:0 glc   // attempt write
s_waitcnt vmcnt(0)                                 // wait for atomic writes

/* check success of writes, update masks */
v_cmp_ne_u64 s[46:47], v[8:9], v[10:11]            // c read during atomic != c read during prior load

/* or masks to check for exit */
s_mov_b64 s[42:43], 0x0                            // empty mask
s_or_b64 s[42:43], s[46:47], s[42:43]              // or to add threads
s_or_saveexec_b64 s[44:45], s[42:43]               // apply combined mask
s_cbranch_execz label_0146                         // if exec is zero skip loop

/* atomic CAS loop */
label_0145:

/* apply updated masks and issue writes again */
s_mov_b64 exec, s[46:47]                           // must try again
v_mov_b32 v10, v8                                  // dataV+2 = tmp (new original C)
v_mov_b32 v11, v9                                  // dataV+3 = tmp (new original C)
v_add_f64 v[8:9], v[10:11], v[vgprValuC+12:vgprValuC+12+1] // newC = rC + originalC
_buffer_atomic_cmpswap_b64 v[8:11], v6, s[sgprSrdD:sgprSrdD+3] 0 offen offset:0 glc   // attempt write
s_waitcnt vmcnt(0)                                 // wait for atomic writes

/* apply masks and check for success */
s_mov_b64 exec, s[46:47]                           // must try again
v_cmp_ne_u64 s[42:43], v[8:9], v[10:11]            // c read during atomic != c read during prior load
s_and_b64 s[46:47], s[42:43], s[46:47]             // inBounds & must try again

/* or masks to check for exit */
s_mov_b64 s[42:43], 0x0                            // empty mask
s_or_b64 s[42:43], s[46:47], s[42:43]              // or to add threads
s_or_saveexec_b64 s[44:45], s[42:43]               // apply combined mask
s_cbranch_execnz label_0145                        // try again if not complete
label_0146:
s_mov_b64 exec, -1                                 // full mask -> exec
s_nop 0                                            // 1 wait state required when next inst writes vgprs held by previous dwordx4 store inst
/* optSingleColVgpr=0 optSharedColVgpr=0 optSGPRUsage=None optSrdIncForRow=0 */

/******************************************/
/* Global Write Alpha Batch #52 (d1,d0,vc1,vc0) = */
/*    (13,0,0,0:vw1:vaw:1)                */
/******************************************/

/* calc coords, apply mask, and issue loads (if necessary) */
/* (d1,vc1,d0,vc0)=(13,0,0,0) */

/* Fix for UseInitialStridesCD, emitAddressSetupCode */
s_mul_i32 s42, s[sgprStrideC1J], 4                 // scale stride
_v_add_u32 v2, v2, s42                             // ROWINC- Move cinRowPtr to next row
s_mul_i32 s42, s[sgprStrideD1J], 4                 // scale stride
_v_add_u32 v3, v3, s42                             // Move coutRowPtr to next row
_v_add_lshl_u32 v6, v3, v0, 0x3                    // scaleToBpe: accumulate d0 lower and *= bpe into Cin addr
_buffer_load_b64 v[10:11], v6, s[sgprSrdD:sgprSrdD+3], 0, offen offset:0 // load D (atomic) bpm=8 vaw=1
v_accvgpr_read_b32 v[vgprValuC+12], acc98 // copy acc to vreg[104]
v_accvgpr_read_b32 v[vgprValuC+13], acc99 // copy acc to vreg[105]
s_nop 1                                            // 2 wait states required before reading vgpr

/* rC *= alpha batchElements=[(13, 0, 0, 0)] */
v_mul_f64 v[vgprValuC+12:vgprValuC+12+1], s[sgprAlpha:sgprAlpha+1], v[vgprValuC+12:vgprValuC+12+1] // *= alpha
s_waitcnt vmcnt(0)                                 // wait C (atomic)

/* issue first atomic writes */
v_add_f64 v[8:9], v[10:11], v[vgprValuC+12:vgprValuC+12+1] // desired value
_buffer_atomic_cmpswap_b64 v[8:11], v6, s[sgprSrdD:sgprSrdD+3] 0 offen offset:0 glc   // attempt write
s_waitcnt vmcnt(0)                                 // wait for atomic writes

/* check success of writes, update masks */
v_cmp_ne_u64 s[46:47], v[8:9], v[10:11]            // c read during atomic != c read during prior load

/* or masks to check for exit */
s_mov_b64 s[42:43], 0x0                            // empty mask
s_or_b64 s[42:43], s[46:47], s[42:43]              // or to add threads
s_or_saveexec_b64 s[44:45], s[42:43]               // apply combined mask
s_cbranch_execz label_0148                         // if exec is zero skip loop

/* atomic CAS loop */
label_0147:

/* apply updated masks and issue writes again */
s_mov_b64 exec, s[46:47]                           // must try again
v_mov_b32 v10, v8                                  // dataV+2 = tmp (new original C)
v_mov_b32 v11, v9                                  // dataV+3 = tmp (new original C)
v_add_f64 v[8:9], v[10:11], v[vgprValuC+12:vgprValuC+12+1] // newC = rC + originalC
_buffer_atomic_cmpswap_b64 v[8:11], v6, s[sgprSrdD:sgprSrdD+3] 0 offen offset:0 glc   // attempt write
s_waitcnt vmcnt(0)                                 // wait for atomic writes

/* apply masks and check for success */
s_mov_b64 exec, s[46:47]                           // must try again
v_cmp_ne_u64 s[42:43], v[8:9], v[10:11]            // c read during atomic != c read during prior load
s_and_b64 s[46:47], s[42:43], s[46:47]             // inBounds & must try again

/* or masks to check for exit */
s_mov_b64 s[42:43], 0x0                            // empty mask
s_or_b64 s[42:43], s[46:47], s[42:43]              // or to add threads
s_or_saveexec_b64 s[44:45], s[42:43]               // apply combined mask
s_cbranch_execnz label_0147                        // try again if not complete
label_0148:
s_mov_b64 exec, -1                                 // full mask -> exec
s_nop 0                                            // 1 wait state required when next inst writes vgprs held by previous dwordx4 store inst
/* optSingleColVgpr=0 optSharedColVgpr=0 optSGPRUsage=None optSrdIncForRow=0 */

/******************************************/
/* Global Write Alpha Batch #53 (d1,d0,vc1,vc0) = */
/*    (13,0,0,1:vw1:vaw:1)                */
/******************************************/

/* calc coords, apply mask, and issue loads (if necessary) */
/* (d1,vc1,d0,vc0)=(13,0,0,1) */
_v_add_co_u32 v4, vcc, v0, 1                       // coord0.1: coord0 += d0*sg0*VW + vc0
_v_add_lshl_u32 v6, v3, v4, 0x3                    // scaleToBpe: accumulate d0 lower and *= bpe into Cin addr
_buffer_load_b64 v[10:11], v6, s[sgprSrdD:sgprSrdD+3], 0, offen offset:0 // load D (atomic) bpm=8 vaw=1
v_accvgpr_read_b32 v[vgprValuC+12], acc106 // copy acc to vreg[106]
v_accvgpr_read_b32 v[vgprValuC+13], acc107 // copy acc to vreg[107]
s_nop 1                                            // 2 wait states required before reading vgpr

/* rC *= alpha batchElements=[(13, 0, 0, 1)] */
v_mul_f64 v[vgprValuC+12:vgprValuC+12+1], s[sgprAlpha:sgprAlpha+1], v[vgprValuC+12:vgprValuC+12+1] // *= alpha
s_waitcnt vmcnt(0)                                 // wait C (atomic)

/* issue first atomic writes */
v_add_f64 v[8:9], v[10:11], v[vgprValuC+12:vgprValuC+12+1] // desired value
_buffer_atomic_cmpswap_b64 v[8:11], v6, s[sgprSrdD:sgprSrdD+3] 0 offen offset:0 glc   // attempt write
s_waitcnt vmcnt(0)                                 // wait for atomic writes

/* check success of writes, update masks */
v_cmp_ne_u64 s[46:47], v[8:9], v[10:11]            // c read during atomic != c read during prior load

/* or masks to check for exit */
s_mov_b64 s[42:43], 0x0                            // empty mask
s_or_b64 s[42:43], s[46:47], s[42:43]              // or to add threads
s_or_saveexec_b64 s[44:45], s[42:43]               // apply combined mask
s_cbranch_execz label_0150                         // if exec is zero skip loop

/* atomic CAS loop */
label_0149:

/* apply updated masks and issue writes again */
s_mov_b64 exec, s[46:47]                           // must try again
v_mov_b32 v10, v8                                  // dataV+2 = tmp (new original C)
v_mov_b32 v11, v9                                  // dataV+3 = tmp (new original C)
v_add_f64 v[8:9], v[10:11], v[vgprValuC+12:vgprValuC+12+1] // newC = rC + originalC
_buffer_atomic_cmpswap_b64 v[8:11], v6, s[sgprSrdD:sgprSrdD+3] 0 offen offset:0 glc   // attempt write
s_waitcnt vmcnt(0)                                 // wait for atomic writes

/* apply masks and check for success */
s_mov_b64 exec, s[46:47]                           // must try again
v_cmp_ne_u64 s[42:43], v[8:9], v[10:11]            // c read during atomic != c read during prior load
s_and_b64 s[46:47], s[42:43], s[46:47]             // inBounds & must try again

/* or masks to check for exit */
s_mov_b64 s[42:43], 0x0                            // empty mask
s_or_b64 s[42:43], s[46:47], s[42:43]              // or to add threads
s_or_saveexec_b64 s[44:45], s[42:43]               // apply combined mask
s_cbranch_execnz label_0149                        // try again if not complete
label_0150:
s_mov_b64 exec, -1                                 // full mask -> exec
s_nop 0                                            // 1 wait state required when next inst writes vgprs held by previous dwordx4 store inst
/* optSingleColVgpr=0 optSharedColVgpr=0 optSGPRUsage=None optSrdIncForRow=0 */

/******************************************/
/* Global Write Alpha Batch #54 (d1,d0,vc1,vc0) = */
/*    (13,1,0,0:vw1:vaw:1)                */
/******************************************/

/* calc coords, apply mask, and issue loads (if necessary) */
/* (d1,vc1,d0,vc0)=(13,0,1,0) */
_v_add_co_u32 v4, vcc, v0, 64                      // coord0.1: coord0 += d0*sg0*VW + vc0
_v_add_lshl_u32 v6, v3, v4, 0x3                    // scaleToBpe: accumulate d0 lower and *= bpe into Cin addr
_buffer_load_b64 v[10:11], v6, s[sgprSrdD:sgprSrdD+3], 0, offen offset:0 // load D (atomic) bpm=8 vaw=1
v_accvgpr_read_b32 v[vgprValuC+12], acc114 // copy acc to vreg[108]
v_accvgpr_read_b32 v[vgprValuC+13], acc115 // copy acc to vreg[109]
s_nop 1                                            // 2 wait states required before reading vgpr

/* rC *= alpha batchElements=[(13, 1, 0, 0)] */
v_mul_f64 v[vgprValuC+12:vgprValuC+12+1], s[sgprAlpha:sgprAlpha+1], v[vgprValuC+12:vgprValuC+12+1] // *= alpha
s_waitcnt vmcnt(0)                                 // wait C (atomic)

/* issue first atomic writes */
v_add_f64 v[8:9], v[10:11], v[vgprValuC+12:vgprValuC+12+1] // desired value
_buffer_atomic_cmpswap_b64 v[8:11], v6, s[sgprSrdD:sgprSrdD+3] 0 offen offset:0 glc   // attempt write
s_waitcnt vmcnt(0)                                 // wait for atomic writes

/* check success of writes, update masks */
v_cmp_ne_u64 s[46:47], v[8:9], v[10:11]            // c read during atomic != c read during prior load

/* or masks to check for exit */
s_mov_b64 s[42:43], 0x0                            // empty mask
s_or_b64 s[42:43], s[46:47], s[42:43]              // or to add threads
s_or_saveexec_b64 s[44:45], s[42:43]               // apply combined mask
s_cbranch_execz label_0152                         // if exec is zero skip loop

/* atomic CAS loop */
label_0151:

/* apply updated masks and issue writes again */
s_mov_b64 exec, s[46:47]                           // must try again
v_mov_b32 v10, v8                                  // dataV+2 = tmp (new original C)
v_mov_b32 v11, v9                                  // dataV+3 = tmp (new original C)
v_add_f64 v[8:9], v[10:11], v[vgprValuC+12:vgprValuC+12+1] // newC = rC + originalC
_buffer_atomic_cmpswap_b64 v[8:11], v6, s[sgprSrdD:sgprSrdD+3] 0 offen offset:0 glc   // attempt write
s_waitcnt vmcnt(0)                                 // wait for atomic writes

/* apply masks and check for success */
s_mov_b64 exec, s[46:47]                           // must try again
v_cmp_ne_u64 s[42:43], v[8:9], v[10:11]            // c read during atomic != c read during prior load
s_and_b64 s[46:47], s[42:43], s[46:47]             // inBounds & must try again

/* or masks to check for exit */
s_mov_b64 s[42:43], 0x0                            // empty mask
s_or_b64 s[42:43], s[46:47], s[42:43]              // or to add threads
s_or_saveexec_b64 s[44:45], s[42:43]               // apply combined mask
s_cbranch_execnz label_0151                        // try again if not complete
label_0152:
s_mov_b64 exec, -1                                 // full mask -> exec
s_nop 0                                            // 1 wait state required when next inst writes vgprs held by previous dwordx4 store inst
/* optSingleColVgpr=0 optSharedColVgpr=0 optSGPRUsage=None optSrdIncForRow=0 */

/******************************************/
/* Global Write Alpha Batch #55 (d1,d0,vc1,vc0) = */
/*    (13,1,0,1:vw1:vaw:1)                */
/******************************************/

/* calc coords, apply mask, and issue loads (if necessary) */
/* (d1,vc1,d0,vc0)=(13,0,1,1) */
s_mov_b32 s42, 65                                  // coordOffset0 d0=1 vc0=1
_v_add_co_u32 v4, vcc, v0, s42                     // coord0.2: coord0 += d0*sg0*VW + vc0
_v_add_lshl_u32 v6, v3, v4, 0x3                    // scaleToBpe: accumulate d0 lower and *= bpe into Cin addr
_buffer_load_b64 v[10:11], v6, s[sgprSrdD:sgprSrdD+3], 0, offen offset:0 // load D (atomic) bpm=8 vaw=1
v_accvgpr_read_b32 v[vgprValuC+12], acc122 // copy acc to vreg[110]
v_accvgpr_read_b32 v[vgprValuC+13], acc123 // copy acc to vreg[111]
s_nop 1                                            // 2 wait states required before reading vgpr

/* rC *= alpha batchElements=[(13, 1, 0, 1)] */
v_mul_f64 v[vgprValuC+12:vgprValuC+12+1], s[sgprAlpha:sgprAlpha+1], v[vgprValuC+12:vgprValuC+12+1] // *= alpha
s_waitcnt vmcnt(0)                                 // wait C (atomic)

/* issue first atomic writes */
v_add_f64 v[8:9], v[10:11], v[vgprValuC+12:vgprValuC+12+1] // desired value
_buffer_atomic_cmpswap_b64 v[8:11], v6, s[sgprSrdD:sgprSrdD+3] 0 offen offset:0 glc   // attempt write
s_waitcnt vmcnt(0)                                 // wait for atomic writes

/* check success of writes, update masks */
v_cmp_ne_u64 s[46:47], v[8:9], v[10:11]            // c read during atomic != c read during prior load

/* or masks to check for exit */
s_mov_b64 s[42:43], 0x0                            // empty mask
s_or_b64 s[42:43], s[46:47], s[42:43]              // or to add threads
s_or_saveexec_b64 s[44:45], s[42:43]               // apply combined mask
s_cbranch_execz label_0154                         // if exec is zero skip loop

/* atomic CAS loop */
label_0153:

/* apply updated masks and issue writes again */
s_mov_b64 exec, s[46:47]                           // must try again
v_mov_b32 v10, v8                                  // dataV+2 = tmp (new original C)
v_mov_b32 v11, v9                                  // dataV+3 = tmp (new original C)
v_add_f64 v[8:9], v[10:11], v[vgprValuC+12:vgprValuC+12+1] // newC = rC + originalC
_buffer_atomic_cmpswap_b64 v[8:11], v6, s[sgprSrdD:sgprSrdD+3] 0 offen offset:0 glc   // attempt write
s_waitcnt vmcnt(0)                                 // wait for atomic writes

/* apply masks and check for success */
s_mov_b64 exec, s[46:47]                           // must try again
v_cmp_ne_u64 s[42:43], v[8:9], v[10:11]            // c read during atomic != c read during prior load
s_and_b64 s[46:47], s[42:43], s[46:47]             // inBounds & must try again

/* or masks to check for exit */
s_mov_b64 s[42:43], 0x0                            // empty mask
s_or_b64 s[42:43], s[46:47], s[42:43]              // or to add threads
s_or_saveexec_b64 s[44:45], s[42:43]               // apply combined mask
s_cbranch_execnz label_0153                        // try again if not complete
label_0154:
s_mov_b64 exec, -1                                 // full mask -> exec
s_nop 0                                            // 1 wait state required when next inst writes vgprs held by previous dwordx4 store inst
/* optSingleColVgpr=0 optSharedColVgpr=0 optSGPRUsage=None optSrdIncForRow=0 */

/******************************************/
/* Global Write Alpha Batch #56 (d1,d0,vc1,vc0) = */
/*    (14,0,0,0:vw1:vaw:1)                */
/******************************************/

/* calc coords, apply mask, and issue loads (if necessary) */
/* (d1,vc1,d0,vc0)=(14,0,0,0) */

/* Fix for UseInitialStridesCD, emitAddressSetupCode */
s_mul_i32 s42, s[sgprStrideC1J], 4                 // scale stride
_v_add_u32 v2, v2, s42                             // ROWINC- Move cinRowPtr to next row
s_mul_i32 s42, s[sgprStrideD1J], 4                 // scale stride
_v_add_u32 v3, v3, s42                             // Move coutRowPtr to next row
_v_add_lshl_u32 v6, v3, v0, 0x3                    // scaleToBpe: accumulate d0 lower and *= bpe into Cin addr
_buffer_load_b64 v[10:11], v6, s[sgprSrdD:sgprSrdD+3], 0, offen offset:0 // load D (atomic) bpm=8 vaw=1
v_accvgpr_read_b32 v[vgprValuC+12], acc100 // copy acc to vreg[112]
v_accvgpr_read_b32 v[vgprValuC+13], acc101 // copy acc to vreg[113]
s_nop 1                                            // 2 wait states required before reading vgpr

/* rC *= alpha batchElements=[(14, 0, 0, 0)] */
v_mul_f64 v[vgprValuC+12:vgprValuC+12+1], s[sgprAlpha:sgprAlpha+1], v[vgprValuC+12:vgprValuC+12+1] // *= alpha
s_waitcnt vmcnt(0)                                 // wait C (atomic)

/* issue first atomic writes */
v_add_f64 v[8:9], v[10:11], v[vgprValuC+12:vgprValuC+12+1] // desired value
_buffer_atomic_cmpswap_b64 v[8:11], v6, s[sgprSrdD:sgprSrdD+3] 0 offen offset:0 glc   // attempt write
s_waitcnt vmcnt(0)                                 // wait for atomic writes

/* check success of writes, update masks */
v_cmp_ne_u64 s[46:47], v[8:9], v[10:11]            // c read during atomic != c read during prior load

/* or masks to check for exit */
s_mov_b64 s[42:43], 0x0                            // empty mask
s_or_b64 s[42:43], s[46:47], s[42:43]              // or to add threads
s_or_saveexec_b64 s[44:45], s[42:43]               // apply combined mask
s_cbranch_execz label_0156                         // if exec is zero skip loop

/* atomic CAS loop */
label_0155:

/* apply updated masks and issue writes again */
s_mov_b64 exec, s[46:47]                           // must try again
v_mov_b32 v10, v8                                  // dataV+2 = tmp (new original C)
v_mov_b32 v11, v9                                  // dataV+3 = tmp (new original C)
v_add_f64 v[8:9], v[10:11], v[vgprValuC+12:vgprValuC+12+1] // newC = rC + originalC
_buffer_atomic_cmpswap_b64 v[8:11], v6, s[sgprSrdD:sgprSrdD+3] 0 offen offset:0 glc   // attempt write
s_waitcnt vmcnt(0)                                 // wait for atomic writes

/* apply masks and check for success */
s_mov_b64 exec, s[46:47]                           // must try again
v_cmp_ne_u64 s[42:43], v[8:9], v[10:11]            // c read during atomic != c read during prior load
s_and_b64 s[46:47], s[42:43], s[46:47]             // inBounds & must try again

/* or masks to check for exit */
s_mov_b64 s[42:43], 0x0                            // empty mask
s_or_b64 s[42:43], s[46:47], s[42:43]              // or to add threads
s_or_saveexec_b64 s[44:45], s[42:43]               // apply combined mask
s_cbranch_execnz label_0155                        // try again if not complete
label_0156:
s_mov_b64 exec, -1                                 // full mask -> exec
s_nop 0                                            // 1 wait state required when next inst writes vgprs held by previous dwordx4 store inst
/* optSingleColVgpr=0 optSharedColVgpr=0 optSGPRUsage=None optSrdIncForRow=0 */

/******************************************/
/* Global Write Alpha Batch #57 (d1,d0,vc1,vc0) = */
/*    (14,0,0,1:vw1:vaw:1)                */
/******************************************/

/* calc coords, apply mask, and issue loads (if necessary) */
/* (d1,vc1,d0,vc0)=(14,0,0,1) */
_v_add_co_u32 v4, vcc, v0, 1                       // coord0.1: coord0 += d0*sg0*VW + vc0
_v_add_lshl_u32 v6, v3, v4, 0x3                    // scaleToBpe: accumulate d0 lower and *= bpe into Cin addr
_buffer_load_b64 v[10:11], v6, s[sgprSrdD:sgprSrdD+3], 0, offen offset:0 // load D (atomic) bpm=8 vaw=1
v_accvgpr_read_b32 v[vgprValuC+12], acc108 // copy acc to vreg[114]
v_accvgpr_read_b32 v[vgprValuC+13], acc109 // copy acc to vreg[115]
s_nop 1                                            // 2 wait states required before reading vgpr

/* rC *= alpha batchElements=[(14, 0, 0, 1)] */
v_mul_f64 v[vgprValuC+12:vgprValuC+12+1], s[sgprAlpha:sgprAlpha+1], v[vgprValuC+12:vgprValuC+12+1] // *= alpha
s_waitcnt vmcnt(0)                                 // wait C (atomic)

/* issue first atomic writes */
v_add_f64 v[8:9], v[10:11], v[vgprValuC+12:vgprValuC+12+1] // desired value
_buffer_atomic_cmpswap_b64 v[8:11], v6, s[sgprSrdD:sgprSrdD+3] 0 offen offset:0 glc   // attempt write
s_waitcnt vmcnt(0)                                 // wait for atomic writes

/* check success of writes, update masks */
v_cmp_ne_u64 s[46:47], v[8:9], v[10:11]            // c read during atomic != c read during prior load

/* or masks to check for exit */
s_mov_b64 s[42:43], 0x0                            // empty mask
s_or_b64 s[42:43], s[46:47], s[42:43]              // or to add threads
s_or_saveexec_b64 s[44:45], s[42:43]               // apply combined mask
s_cbranch_execz label_0158                         // if exec is zero skip loop

/* atomic CAS loop */
label_0157:

/* apply updated masks and issue writes again */
s_mov_b64 exec, s[46:47]                           // must try again
v_mov_b32 v10, v8                                  // dataV+2 = tmp (new original C)
v_mov_b32 v11, v9                                  // dataV+3 = tmp (new original C)
v_add_f64 v[8:9], v[10:11], v[vgprValuC+12:vgprValuC+12+1] // newC = rC + originalC
_buffer_atomic_cmpswap_b64 v[8:11], v6, s[sgprSrdD:sgprSrdD+3] 0 offen offset:0 glc   // attempt write
s_waitcnt vmcnt(0)                                 // wait for atomic writes

/* apply masks and check for success */
s_mov_b64 exec, s[46:47]                           // must try again
v_cmp_ne_u64 s[42:43], v[8:9], v[10:11]            // c read during atomic != c read during prior load
s_and_b64 s[46:47], s[42:43], s[46:47]             // inBounds & must try again

/* or masks to check for exit */
s_mov_b64 s[42:43], 0x0                            // empty mask
s_or_b64 s[42:43], s[46:47], s[42:43]              // or to add threads
s_or_saveexec_b64 s[44:45], s[42:43]               // apply combined mask
s_cbranch_execnz label_0157                        // try again if not complete
label_0158:
s_mov_b64 exec, -1                                 // full mask -> exec
s_nop 0                                            // 1 wait state required when next inst writes vgprs held by previous dwordx4 store inst
/* optSingleColVgpr=0 optSharedColVgpr=0 optSGPRUsage=None optSrdIncForRow=0 */

/******************************************/
/* Global Write Alpha Batch #58 (d1,d0,vc1,vc0) = */
/*    (14,1,0,0:vw1:vaw:1)                */
/******************************************/

/* calc coords, apply mask, and issue loads (if necessary) */
/* (d1,vc1,d0,vc0)=(14,0,1,0) */
_v_add_co_u32 v4, vcc, v0, 64                      // coord0.1: coord0 += d0*sg0*VW + vc0
_v_add_lshl_u32 v6, v3, v4, 0x3                    // scaleToBpe: accumulate d0 lower and *= bpe into Cin addr
_buffer_load_b64 v[10:11], v6, s[sgprSrdD:sgprSrdD+3], 0, offen offset:0 // load D (atomic) bpm=8 vaw=1
v_accvgpr_read_b32 v[vgprValuC+12], acc116 // copy acc to vreg[116]
v_accvgpr_read_b32 v[vgprValuC+13], acc117 // copy acc to vreg[117]
s_nop 1                                            // 2 wait states required before reading vgpr

/* rC *= alpha batchElements=[(14, 1, 0, 0)] */
v_mul_f64 v[vgprValuC+12:vgprValuC+12+1], s[sgprAlpha:sgprAlpha+1], v[vgprValuC+12:vgprValuC+12+1] // *= alpha
s_waitcnt vmcnt(0)                                 // wait C (atomic)

/* issue first atomic writes */
v_add_f64 v[8:9], v[10:11], v[vgprValuC+12:vgprValuC+12+1] // desired value
_buffer_atomic_cmpswap_b64 v[8:11], v6, s[sgprSrdD:sgprSrdD+3] 0 offen offset:0 glc   // attempt write
s_waitcnt vmcnt(0)                                 // wait for atomic writes

/* check success of writes, update masks */
v_cmp_ne_u64 s[46:47], v[8:9], v[10:11]            // c read during atomic != c read during prior load

/* or masks to check for exit */
s_mov_b64 s[42:43], 0x0                            // empty mask
s_or_b64 s[42:43], s[46:47], s[42:43]              // or to add threads
s_or_saveexec_b64 s[44:45], s[42:43]               // apply combined mask
s_cbranch_execz label_0160                         // if exec is zero skip loop

/* atomic CAS loop */
label_0159:

/* apply updated masks and issue writes again */
s_mov_b64 exec, s[46:47]                           // must try again
v_mov_b32 v10, v8                                  // dataV+2 = tmp (new original C)
v_mov_b32 v11, v9                                  // dataV+3 = tmp (new original C)
v_add_f64 v[8:9], v[10:11], v[vgprValuC+12:vgprValuC+12+1] // newC = rC + originalC
_buffer_atomic_cmpswap_b64 v[8:11], v6, s[sgprSrdD:sgprSrdD+3] 0 offen offset:0 glc   // attempt write
s_waitcnt vmcnt(0)                                 // wait for atomic writes

/* apply masks and check for success */
s_mov_b64 exec, s[46:47]                           // must try again
v_cmp_ne_u64 s[42:43], v[8:9], v[10:11]            // c read during atomic != c read during prior load
s_and_b64 s[46:47], s[42:43], s[46:47]             // inBounds & must try again

/* or masks to check for exit */
s_mov_b64 s[42:43], 0x0                            // empty mask
s_or_b64 s[42:43], s[46:47], s[42:43]              // or to add threads
s_or_saveexec_b64 s[44:45], s[42:43]               // apply combined mask
s_cbranch_execnz label_0159                        // try again if not complete
label_0160:
s_mov_b64 exec, -1                                 // full mask -> exec
s_nop 0                                            // 1 wait state required when next inst writes vgprs held by previous dwordx4 store inst
/* optSingleColVgpr=0 optSharedColVgpr=0 optSGPRUsage=None optSrdIncForRow=0 */

/******************************************/
/* Global Write Alpha Batch #59 (d1,d0,vc1,vc0) = */
/*    (14,1,0,1:vw1:vaw:1)                */
/******************************************/

/* calc coords, apply mask, and issue loads (if necessary) */
/* (d1,vc1,d0,vc0)=(14,0,1,1) */
s_mov_b32 s42, 65                                  // coordOffset0 d0=1 vc0=1
_v_add_co_u32 v4, vcc, v0, s42                     // coord0.2: coord0 += d0*sg0*VW + vc0
_v_add_lshl_u32 v6, v3, v4, 0x3                    // scaleToBpe: accumulate d0 lower and *= bpe into Cin addr
_buffer_load_b64 v[10:11], v6, s[sgprSrdD:sgprSrdD+3], 0, offen offset:0 // load D (atomic) bpm=8 vaw=1
v_accvgpr_read_b32 v[vgprValuC+12], acc124 // copy acc to vreg[118]
v_accvgpr_read_b32 v[vgprValuC+13], acc125 // copy acc to vreg[119]
s_nop 1                                            // 2 wait states required before reading vgpr

/* rC *= alpha batchElements=[(14, 1, 0, 1)] */
v_mul_f64 v[vgprValuC+12:vgprValuC+12+1], s[sgprAlpha:sgprAlpha+1], v[vgprValuC+12:vgprValuC+12+1] // *= alpha
s_waitcnt vmcnt(0)                                 // wait C (atomic)

/* issue first atomic writes */
v_add_f64 v[8:9], v[10:11], v[vgprValuC+12:vgprValuC+12+1] // desired value
_buffer_atomic_cmpswap_b64 v[8:11], v6, s[sgprSrdD:sgprSrdD+3] 0 offen offset:0 glc   // attempt write
s_waitcnt vmcnt(0)                                 // wait for atomic writes

/* check success of writes, update masks */
v_cmp_ne_u64 s[46:47], v[8:9], v[10:11]            // c read during atomic != c read during prior load

/* or masks to check for exit */
s_mov_b64 s[42:43], 0x0                            // empty mask
s_or_b64 s[42:43], s[46:47], s[42:43]              // or to add threads
s_or_saveexec_b64 s[44:45], s[42:43]               // apply combined mask
s_cbranch_execz label_0162                         // if exec is zero skip loop

/* atomic CAS loop */
label_0161:

/* apply updated masks and issue writes again */
s_mov_b64 exec, s[46:47]                           // must try again
v_mov_b32 v10, v8                                  // dataV+2 = tmp (new original C)
v_mov_b32 v11, v9                                  // dataV+3 = tmp (new original C)
v_add_f64 v[8:9], v[10:11], v[vgprValuC+12:vgprValuC+12+1] // newC = rC + originalC
_buffer_atomic_cmpswap_b64 v[8:11], v6, s[sgprSrdD:sgprSrdD+3] 0 offen offset:0 glc   // attempt write
s_waitcnt vmcnt(0)                                 // wait for atomic writes

/* apply masks and check for success */
s_mov_b64 exec, s[46:47]                           // must try again
v_cmp_ne_u64 s[42:43], v[8:9], v[10:11]            // c read during atomic != c read during prior load
s_and_b64 s[46:47], s[42:43], s[46:47]             // inBounds & must try again

/* or masks to check for exit */
s_mov_b64 s[42:43], 0x0                            // empty mask
s_or_b64 s[42:43], s[46:47], s[42:43]              // or to add threads
s_or_saveexec_b64 s[44:45], s[42:43]               // apply combined mask
s_cbranch_execnz label_0161                        // try again if not complete
label_0162:
s_mov_b64 exec, -1                                 // full mask -> exec
s_nop 0                                            // 1 wait state required when next inst writes vgprs held by previous dwordx4 store inst
/* optSingleColVgpr=0 optSharedColVgpr=0 optSGPRUsage=None optSrdIncForRow=0 */

/******************************************/
/* Global Write Alpha Batch #60 (d1,d0,vc1,vc0) = */
/*    (15,0,0,0:vw1:vaw:1)                */
/******************************************/

/* calc coords, apply mask, and issue loads (if necessary) */
/* (d1,vc1,d0,vc0)=(15,0,0,0) */

/* Fix for UseInitialStridesCD, emitAddressSetupCode */
s_mul_i32 s42, s[sgprStrideC1J], 4                 // scale stride
_v_add_u32 v2, v2, s42                             // ROWINC- Move cinRowPtr to next row
s_mul_i32 s42, s[sgprStrideD1J], 4                 // scale stride
_v_add_u32 v3, v3, s42                             // Move coutRowPtr to next row
_v_add_lshl_u32 v6, v3, v0, 0x3                    // scaleToBpe: accumulate d0 lower and *= bpe into Cin addr
_buffer_load_b64 v[10:11], v6, s[sgprSrdD:sgprSrdD+3], 0, offen offset:0 // load D (atomic) bpm=8 vaw=1
v_accvgpr_read_b32 v[vgprValuC+12], acc102 // copy acc to vreg[120]
v_accvgpr_read_b32 v[vgprValuC+13], acc103 // copy acc to vreg[121]
s_nop 1                                            // 2 wait states required before reading vgpr

/* rC *= alpha batchElements=[(15, 0, 0, 0)] */
v_mul_f64 v[vgprValuC+12:vgprValuC+12+1], s[sgprAlpha:sgprAlpha+1], v[vgprValuC+12:vgprValuC+12+1] // *= alpha
s_waitcnt vmcnt(0)                                 // wait C (atomic)

/* issue first atomic writes */
v_add_f64 v[8:9], v[10:11], v[vgprValuC+12:vgprValuC+12+1] // desired value
_buffer_atomic_cmpswap_b64 v[8:11], v6, s[sgprSrdD:sgprSrdD+3] 0 offen offset:0 glc   // attempt write
s_waitcnt vmcnt(0)                                 // wait for atomic writes

/* check success of writes, update masks */
v_cmp_ne_u64 s[46:47], v[8:9], v[10:11]            // c read during atomic != c read during prior load

/* or masks to check for exit */
s_mov_b64 s[42:43], 0x0                            // empty mask
s_or_b64 s[42:43], s[46:47], s[42:43]              // or to add threads
s_or_saveexec_b64 s[44:45], s[42:43]               // apply combined mask
s_cbranch_execz label_0164                         // if exec is zero skip loop

/* atomic CAS loop */
label_0163:

/* apply updated masks and issue writes again */
s_mov_b64 exec, s[46:47]                           // must try again
v_mov_b32 v10, v8                                  // dataV+2 = tmp (new original C)
v_mov_b32 v11, v9                                  // dataV+3 = tmp (new original C)
v_add_f64 v[8:9], v[10:11], v[vgprValuC+12:vgprValuC+12+1] // newC = rC + originalC
_buffer_atomic_cmpswap_b64 v[8:11], v6, s[sgprSrdD:sgprSrdD+3] 0 offen offset:0 glc   // attempt write
s_waitcnt vmcnt(0)                                 // wait for atomic writes

/* apply masks and check for success */
s_mov_b64 exec, s[46:47]                           // must try again
v_cmp_ne_u64 s[42:43], v[8:9], v[10:11]            // c read during atomic != c read during prior load
s_and_b64 s[46:47], s[42:43], s[46:47]             // inBounds & must try again

/* or masks to check for exit */
s_mov_b64 s[42:43], 0x0                            // empty mask
s_or_b64 s[42:43], s[46:47], s[42:43]              // or to add threads
s_or_saveexec_b64 s[44:45], s[42:43]               // apply combined mask
s_cbranch_execnz label_0163                        // try again if not complete
label_0164:
s_mov_b64 exec, -1                                 // full mask -> exec
s_nop 0                                            // 1 wait state required when next inst writes vgprs held by previous dwordx4 store inst
/* optSingleColVgpr=0 optSharedColVgpr=0 optSGPRUsage=None optSrdIncForRow=0 */

/******************************************/
/* Global Write Alpha Batch #61 (d1,d0,vc1,vc0) = */
/*    (15,0,0,1:vw1:vaw:1)                */
/******************************************/

/* calc coords, apply mask, and issue loads (if necessary) */
/* (d1,vc1,d0,vc0)=(15,0,0,1) */
_v_add_co_u32 v4, vcc, v0, 1                       // coord0.1: coord0 += d0*sg0*VW + vc0
_v_add_lshl_u32 v6, v3, v4, 0x3                    // scaleToBpe: accumulate d0 lower and *= bpe into Cin addr
_buffer_load_b64 v[10:11], v6, s[sgprSrdD:sgprSrdD+3], 0, offen offset:0 // load D (atomic) bpm=8 vaw=1
v_accvgpr_read_b32 v[vgprValuC+12], acc110 // copy acc to vreg[122]
v_accvgpr_read_b32 v[vgprValuC+13], acc111 // copy acc to vreg[123]
s_nop 1                                            // 2 wait states required before reading vgpr

/* rC *= alpha batchElements=[(15, 0, 0, 1)] */
v_mul_f64 v[vgprValuC+12:vgprValuC+12+1], s[sgprAlpha:sgprAlpha+1], v[vgprValuC+12:vgprValuC+12+1] // *= alpha
s_waitcnt vmcnt(0)                                 // wait C (atomic)

/* issue first atomic writes */
v_add_f64 v[8:9], v[10:11], v[vgprValuC+12:vgprValuC+12+1] // desired value
_buffer_atomic_cmpswap_b64 v[8:11], v6, s[sgprSrdD:sgprSrdD+3] 0 offen offset:0 glc   // attempt write
s_waitcnt vmcnt(0)                                 // wait for atomic writes

/* check success of writes, update masks */
v_cmp_ne_u64 s[46:47], v[8:9], v[10:11]            // c read during atomic != c read during prior load

/* or masks to check for exit */
s_mov_b64 s[42:43], 0x0                            // empty mask
s_or_b64 s[42:43], s[46:47], s[42:43]              // or to add threads
s_or_saveexec_b64 s[44:45], s[42:43]               // apply combined mask
s_cbranch_execz label_0166                         // if exec is zero skip loop

/* atomic CAS loop */
label_0165:

/* apply updated masks and issue writes again */
s_mov_b64 exec, s[46:47]                           // must try again
v_mov_b32 v10, v8                                  // dataV+2 = tmp (new original C)
v_mov_b32 v11, v9                                  // dataV+3 = tmp (new original C)
v_add_f64 v[8:9], v[10:11], v[vgprValuC+12:vgprValuC+12+1] // newC = rC + originalC
_buffer_atomic_cmpswap_b64 v[8:11], v6, s[sgprSrdD:sgprSrdD+3] 0 offen offset:0 glc   // attempt write
s_waitcnt vmcnt(0)                                 // wait for atomic writes

/* apply masks and check for success */
s_mov_b64 exec, s[46:47]                           // must try again
v_cmp_ne_u64 s[42:43], v[8:9], v[10:11]            // c read during atomic != c read during prior load
s_and_b64 s[46:47], s[42:43], s[46:47]             // inBounds & must try again

/* or masks to check for exit */
s_mov_b64 s[42:43], 0x0                            // empty mask
s_or_b64 s[42:43], s[46:47], s[42:43]              // or to add threads
s_or_saveexec_b64 s[44:45], s[42:43]               // apply combined mask
s_cbranch_execnz label_0165                        // try again if not complete
label_0166:
s_mov_b64 exec, -1                                 // full mask -> exec
s_nop 0                                            // 1 wait state required when next inst writes vgprs held by previous dwordx4 store inst
/* optSingleColVgpr=0 optSharedColVgpr=0 optSGPRUsage=None optSrdIncForRow=0 */

/******************************************/
/* Global Write Alpha Batch #62 (d1,d0,vc1,vc0) = */
/*    (15,1,0,0:vw1:vaw:1)                */
/******************************************/

/* calc coords, apply mask, and issue loads (if necessary) */
/* (d1,vc1,d0,vc0)=(15,0,1,0) */
_v_add_co_u32 v4, vcc, v0, 64                      // coord0.1: coord0 += d0*sg0*VW + vc0
_v_add_lshl_u32 v6, v3, v4, 0x3                    // scaleToBpe: accumulate d0 lower and *= bpe into Cin addr
_buffer_load_b64 v[10:11], v6, s[sgprSrdD:sgprSrdD+3], 0, offen offset:0 // load D (atomic) bpm=8 vaw=1
v_accvgpr_read_b32 v[vgprValuC+12], acc118 // copy acc to vreg[124]
v_accvgpr_read_b32 v[vgprValuC+13], acc119 // copy acc to vreg[125]
s_nop 1                                            // 2 wait states required before reading vgpr

/* rC *= alpha batchElements=[(15, 1, 0, 0)] */
v_mul_f64 v[vgprValuC+12:vgprValuC+12+1], s[sgprAlpha:sgprAlpha+1], v[vgprValuC+12:vgprValuC+12+1] // *= alpha
s_waitcnt vmcnt(0)                                 // wait C (atomic)

/* issue first atomic writes */
v_add_f64 v[8:9], v[10:11], v[vgprValuC+12:vgprValuC+12+1] // desired value
_buffer_atomic_cmpswap_b64 v[8:11], v6, s[sgprSrdD:sgprSrdD+3] 0 offen offset:0 glc   // attempt write
s_waitcnt vmcnt(0)                                 // wait for atomic writes

/* check success of writes, update masks */
v_cmp_ne_u64 s[46:47], v[8:9], v[10:11]            // c read during atomic != c read during prior load

/* or masks to check for exit */
s_mov_b64 s[42:43], 0x0                            // empty mask
s_or_b64 s[42:43], s[46:47], s[42:43]              // or to add threads
s_or_saveexec_b64 s[44:45], s[42:43]               // apply combined mask
s_cbranch_execz label_0168                         // if exec is zero skip loop

/* atomic CAS loop */
label_0167:

/* apply updated masks and issue writes again */
s_mov_b64 exec, s[46:47]                           // must try again
v_mov_b32 v10, v8                                  // dataV+2 = tmp (new original C)
v_mov_b32 v11, v9                                  // dataV+3 = tmp (new original C)
v_add_f64 v[8:9], v[10:11], v[vgprValuC+12:vgprValuC+12+1] // newC = rC + originalC
_buffer_atomic_cmpswap_b64 v[8:11], v6, s[sgprSrdD:sgprSrdD+3] 0 offen offset:0 glc   // attempt write
s_waitcnt vmcnt(0)                                 // wait for atomic writes

/* apply masks and check for success */
s_mov_b64 exec, s[46:47]                           // must try again
v_cmp_ne_u64 s[42:43], v[8:9], v[10:11]            // c read during atomic != c read during prior load
s_and_b64 s[46:47], s[42:43], s[46:47]             // inBounds & must try again

/* or masks to check for exit */
s_mov_b64 s[42:43], 0x0                            // empty mask
s_or_b64 s[42:43], s[46:47], s[42:43]              // or to add threads
s_or_saveexec_b64 s[44:45], s[42:43]               // apply combined mask
s_cbranch_execnz label_0167                        // try again if not complete
label_0168:
s_mov_b64 exec, -1                                 // full mask -> exec
s_nop 0                                            // 1 wait state required when next inst writes vgprs held by previous dwordx4 store inst
/* optSingleColVgpr=0 optSharedColVgpr=0 optSGPRUsage=None optSrdIncForRow=0 */

/******************************************/
/* Global Write Alpha Batch #63 (d1,d0,vc1,vc0) = */
/*    (15,1,0,1:vw1:vaw:1)                */
/******************************************/

/* calc coords, apply mask, and issue loads (if necessary) */
/* (d1,vc1,d0,vc0)=(15,0,1,1) */
s_mov_b32 s42, 65                                  // coordOffset0 d0=1 vc0=1
_v_add_co_u32 v4, vcc, v0, s42                     // coord0.2: coord0 += d0*sg0*VW + vc0
_v_add_lshl_u32 v6, v3, v4, 0x3                    // scaleToBpe: accumulate d0 lower and *= bpe into Cin addr
_buffer_load_b64 v[10:11], v6, s[sgprSrdD:sgprSrdD+3], 0, offen offset:0 // load D (atomic) bpm=8 vaw=1
v_accvgpr_read_b32 v[vgprValuC+12], acc126 // copy acc to vreg[126]
v_accvgpr_read_b32 v[vgprValuC+13], acc127 // copy acc to vreg[127]
s_nop 1                                            // 2 wait states required before reading vgpr

/* rC *= alpha batchElements=[(15, 1, 0, 1)] */
v_mul_f64 v[vgprValuC+12:vgprValuC+12+1], s[sgprAlpha:sgprAlpha+1], v[vgprValuC+12:vgprValuC+12+1] // *= alpha
s_waitcnt vmcnt(0)                                 // wait C (atomic)

/* issue first atomic writes */
v_add_f64 v[8:9], v[10:11], v[vgprValuC+12:vgprValuC+12+1] // desired value
_buffer_atomic_cmpswap_b64 v[8:11], v6, s[sgprSrdD:sgprSrdD+3] 0 offen offset:0 glc   // attempt write
s_waitcnt vmcnt(0)                                 // wait for atomic writes

/* check success of writes, update masks */
v_cmp_ne_u64 s[46:47], v[8:9], v[10:11]            // c read during atomic != c read during prior load

/* or masks to check for exit */
s_mov_b64 s[42:43], 0x0                            // empty mask
s_or_b64 s[42:43], s[46:47], s[42:43]              // or to add threads
s_or_saveexec_b64 s[44:45], s[42:43]               // apply combined mask
s_cbranch_execz label_0170                         // if exec is zero skip loop

/* atomic CAS loop */
label_0169:

/* apply updated masks and issue writes again */
s_mov_b64 exec, s[46:47]                           // must try again
v_mov_b32 v10, v8                                  // dataV+2 = tmp (new original C)
v_mov_b32 v11, v9                                  // dataV+3 = tmp (new original C)
v_add_f64 v[8:9], v[10:11], v[vgprValuC+12:vgprValuC+12+1] // newC = rC + originalC
_buffer_atomic_cmpswap_b64 v[8:11], v6, s[sgprSrdD:sgprSrdD+3] 0 offen offset:0 glc   // attempt write
s_waitcnt vmcnt(0)                                 // wait for atomic writes

/* apply masks and check for success */
s_mov_b64 exec, s[46:47]                           // must try again
v_cmp_ne_u64 s[42:43], v[8:9], v[10:11]            // c read during atomic != c read during prior load
s_and_b64 s[46:47], s[42:43], s[46:47]             // inBounds & must try again

/* or masks to check for exit */
s_mov_b64 s[42:43], 0x0                            // empty mask
s_or_b64 s[42:43], s[46:47], s[42:43]              // or to add threads
s_or_saveexec_b64 s[44:45], s[42:43]               // apply combined mask
s_cbranch_execnz label_0169                        // try again if not complete
label_0170:
s_mov_b64 exec, -1                                 // full mask -> exec
s_nop 0                                            // 1 wait state required when next inst writes vgprs held by previous dwordx4 store inst
s_branch label_GW_End_38                           // jump to end
GW_B0_E1_36:

/* edge=1, allocate 6 sgpr. perBatchTmpS=4 perBatchMaskS=0 perElementMaskS=2 elementsPerBatch=1 */
/* optSingleColVgpr=0 optSharedColVgpr=0 optSGPRUsage=None optSrdIncForRow=0 */

/******************************************/
/* Global Write Alpha Edge Batch #0 (d1,d0,vc1,vc0) = */
/*    (0,0,0,0:vw1:vaw:1)                 */
/******************************************/

/* calc coords, apply mask, and issue loads (if necessary) */
/* (d1,vc1,d0,vc0)=(0,0,0,0) */
v_cmp_lt_u32 s[42:43], v0, s[sgprSizeI]            // coord0 < size0
v_cmp_lt_u32 s[46:47], v1, s[sgprSizeJ]            // coord1 < size1
s_and_b64 s[46:47], s[42:43], s[46:47]             // in0 && in1
_v_add_lshl_u32 v6, v3, v0, 0x3                    // scaleToBpe: accumulate d0 lower and *= bpe into Cin addr
v_cndmask_b32 v6, -1, v6, s[46:47]                 // LDD clip if OOB. offset
_buffer_load_b64 v[10:11], v6, s[sgprSrdD:sgprSrdD+3], 0, offen offset:0 // load D (atomic) bpm=8 vaw=1
v_accvgpr_read_b32 v[vgprValuC+12], acc0 // copy acc to vreg[0]
v_accvgpr_read_b32 v[vgprValuC+13], acc1 // copy acc to vreg[1]
s_nop 1                                            // 2 wait states required before reading vgpr

/* rC *= alpha batchElements=[(0, 0, 0, 0)] */
v_mul_f64 v[vgprValuC+12:vgprValuC+12+1], s[sgprAlpha:sgprAlpha+1], v[vgprValuC+12:vgprValuC+12+1] // *= alpha
s_waitcnt vmcnt(0)                                 // wait C (atomic)

/* issue first atomic writes */
s_mov_b64 exec, s[46:47]                           // sgprs -> exec (before atomic)
v_add_f64 v[8:9], v[10:11], v[vgprValuC+12:vgprValuC+12+1] // desired value
_buffer_atomic_cmpswap_b64 v[8:11], v6, s[sgprSrdD:sgprSrdD+3] 0 offen offset:0 glc   // attempt write
s_waitcnt vmcnt(0)                                 // wait for atomic writes

/* check success of writes, update masks */
s_mov_b64 exec, s[46:47]                           // sgprs -> exec
v_cmp_ne_u64 s[42:43], v[8:9], v[10:11]            // c read during atomic != c read during prior load
s_and_b64 s[46:47], s[42:43], s[46:47]             // inBounds & must try again

/* or masks to check for exit */
s_mov_b64 s[42:43], 0x0                            // empty mask
s_or_b64 s[42:43], s[46:47], s[42:43]              // or to add threads
s_or_saveexec_b64 s[44:45], s[42:43]               // apply combined mask
s_cbranch_execz label_0172                         // if exec is zero skip loop

/* atomic CAS loop */
label_0171:

/* apply updated masks and issue writes again */
s_mov_b64 exec, s[46:47]                           // must try again
v_mov_b32 v10, v8                                  // dataV+2 = tmp (new original C)
v_mov_b32 v11, v9                                  // dataV+3 = tmp (new original C)
v_add_f64 v[8:9], v[10:11], v[vgprValuC+12:vgprValuC+12+1] // newC = rC + originalC
_buffer_atomic_cmpswap_b64 v[8:11], v6, s[sgprSrdD:sgprSrdD+3] 0 offen offset:0 glc   // attempt write
s_waitcnt vmcnt(0)                                 // wait for atomic writes

/* apply masks and check for success */
s_mov_b64 exec, s[46:47]                           // must try again
v_cmp_ne_u64 s[42:43], v[8:9], v[10:11]            // c read during atomic != c read during prior load
s_and_b64 s[46:47], s[42:43], s[46:47]             // inBounds & must try again

/* or masks to check for exit */
s_mov_b64 s[42:43], 0x0                            // empty mask
s_or_b64 s[42:43], s[46:47], s[42:43]              // or to add threads
s_or_saveexec_b64 s[44:45], s[42:43]               // apply combined mask
s_cbranch_execnz label_0171                        // try again if not complete
label_0172:
s_mov_b64 exec, -1                                 // full mask -> exec
s_nop 0                                            // 1 wait state required when next inst writes vgprs held by previous dwordx4 store inst
/* optSingleColVgpr=0 optSharedColVgpr=0 optSGPRUsage=None optSrdIncForRow=0 */

/******************************************/
/* Global Write Alpha Edge Batch #1 (d1,d0,vc1,vc0) = */
/*    (0,0,0,1:vw1:vaw:1)                 */
/******************************************/

/* calc coords, apply mask, and issue loads (if necessary) */
/* (d1,vc1,d0,vc0)=(0,0,0,1) */
_v_add_co_u32 v4, vcc, v0, 1                       // coord0.1: coord0 += d0*sg0*VW + vc0
v_cmp_lt_u32 s[42:43], v4, s[sgprSizeI]            // coord0 < size0
v_cmp_lt_u32 s[46:47], v1, s[sgprSizeJ]            // coord1 < size1
s_and_b64 s[46:47], s[42:43], s[46:47]             // in0 && in1
_v_add_lshl_u32 v6, v3, v4, 0x3                    // scaleToBpe: accumulate d0 lower and *= bpe into Cin addr
v_cndmask_b32 v6, -1, v6, s[46:47]                 // LDD clip if OOB. offset
_buffer_load_b64 v[10:11], v6, s[sgprSrdD:sgprSrdD+3], 0, offen offset:0 // load D (atomic) bpm=8 vaw=1
v_accvgpr_read_b32 v[vgprValuC+12], acc8 // copy acc to vreg[2]
v_accvgpr_read_b32 v[vgprValuC+13], acc9 // copy acc to vreg[3]
s_nop 1                                            // 2 wait states required before reading vgpr

/* rC *= alpha batchElements=[(0, 0, 0, 1)] */
v_mul_f64 v[vgprValuC+12:vgprValuC+12+1], s[sgprAlpha:sgprAlpha+1], v[vgprValuC+12:vgprValuC+12+1] // *= alpha
s_waitcnt vmcnt(0)                                 // wait C (atomic)

/* issue first atomic writes */
s_mov_b64 exec, s[46:47]                           // sgprs -> exec (before atomic)
v_add_f64 v[8:9], v[10:11], v[vgprValuC+12:vgprValuC+12+1] // desired value
_buffer_atomic_cmpswap_b64 v[8:11], v6, s[sgprSrdD:sgprSrdD+3] 0 offen offset:0 glc   // attempt write
s_waitcnt vmcnt(0)                                 // wait for atomic writes

/* check success of writes, update masks */
s_mov_b64 exec, s[46:47]                           // sgprs -> exec
v_cmp_ne_u64 s[42:43], v[8:9], v[10:11]            // c read during atomic != c read during prior load
s_and_b64 s[46:47], s[42:43], s[46:47]             // inBounds & must try again

/* or masks to check for exit */
s_mov_b64 s[42:43], 0x0                            // empty mask
s_or_b64 s[42:43], s[46:47], s[42:43]              // or to add threads
s_or_saveexec_b64 s[44:45], s[42:43]               // apply combined mask
s_cbranch_execz label_0174                         // if exec is zero skip loop

/* atomic CAS loop */
label_0173:

/* apply updated masks and issue writes again */
s_mov_b64 exec, s[46:47]                           // must try again
v_mov_b32 v10, v8                                  // dataV+2 = tmp (new original C)
v_mov_b32 v11, v9                                  // dataV+3 = tmp (new original C)
v_add_f64 v[8:9], v[10:11], v[vgprValuC+12:vgprValuC+12+1] // newC = rC + originalC
_buffer_atomic_cmpswap_b64 v[8:11], v6, s[sgprSrdD:sgprSrdD+3] 0 offen offset:0 glc   // attempt write
s_waitcnt vmcnt(0)                                 // wait for atomic writes

/* apply masks and check for success */
s_mov_b64 exec, s[46:47]                           // must try again
v_cmp_ne_u64 s[42:43], v[8:9], v[10:11]            // c read during atomic != c read during prior load
s_and_b64 s[46:47], s[42:43], s[46:47]             // inBounds & must try again

/* or masks to check for exit */
s_mov_b64 s[42:43], 0x0                            // empty mask
s_or_b64 s[42:43], s[46:47], s[42:43]              // or to add threads
s_or_saveexec_b64 s[44:45], s[42:43]               // apply combined mask
s_cbranch_execnz label_0173                        // try again if not complete
label_0174:
s_mov_b64 exec, -1                                 // full mask -> exec
s_nop 0                                            // 1 wait state required when next inst writes vgprs held by previous dwordx4 store inst
/* optSingleColVgpr=0 optSharedColVgpr=0 optSGPRUsage=None optSrdIncForRow=0 */

/******************************************/
/* Global Write Alpha Edge Batch #2 (d1,d0,vc1,vc0) = */
/*    (0,1,0,0:vw1:vaw:1)                 */
/******************************************/

/* calc coords, apply mask, and issue loads (if necessary) */
/* (d1,vc1,d0,vc0)=(0,0,1,0) */
_v_add_co_u32 v4, vcc, v0, 64                      // coord0.1: coord0 += d0*sg0*VW + vc0
v_cmp_lt_u32 s[42:43], v4, s[sgprSizeI]            // coord0 < size0
v_cmp_lt_u32 s[46:47], v1, s[sgprSizeJ]            // coord1 < size1
s_and_b64 s[46:47], s[42:43], s[46:47]             // in0 && in1
_v_add_lshl_u32 v6, v3, v4, 0x3                    // scaleToBpe: accumulate d0 lower and *= bpe into Cin addr
v_cndmask_b32 v6, -1, v6, s[46:47]                 // LDD clip if OOB. offset
_buffer_load_b64 v[10:11], v6, s[sgprSrdD:sgprSrdD+3], 0, offen offset:0 // load D (atomic) bpm=8 vaw=1
v_accvgpr_read_b32 v[vgprValuC+12], acc16 // copy acc to vreg[4]
v_accvgpr_read_b32 v[vgprValuC+13], acc17 // copy acc to vreg[5]
s_nop 1                                            // 2 wait states required before reading vgpr

/* rC *= alpha batchElements=[(0, 1, 0, 0)] */
v_mul_f64 v[vgprValuC+12:vgprValuC+12+1], s[sgprAlpha:sgprAlpha+1], v[vgprValuC+12:vgprValuC+12+1] // *= alpha
s_waitcnt vmcnt(0)                                 // wait C (atomic)

/* issue first atomic writes */
s_mov_b64 exec, s[46:47]                           // sgprs -> exec (before atomic)
v_add_f64 v[8:9], v[10:11], v[vgprValuC+12:vgprValuC+12+1] // desired value
_buffer_atomic_cmpswap_b64 v[8:11], v6, s[sgprSrdD:sgprSrdD+3] 0 offen offset:0 glc   // attempt write
s_waitcnt vmcnt(0)                                 // wait for atomic writes

/* check success of writes, update masks */
s_mov_b64 exec, s[46:47]                           // sgprs -> exec
v_cmp_ne_u64 s[42:43], v[8:9], v[10:11]            // c read during atomic != c read during prior load
s_and_b64 s[46:47], s[42:43], s[46:47]             // inBounds & must try again

/* or masks to check for exit */
s_mov_b64 s[42:43], 0x0                            // empty mask
s_or_b64 s[42:43], s[46:47], s[42:43]              // or to add threads
s_or_saveexec_b64 s[44:45], s[42:43]               // apply combined mask
s_cbranch_execz label_0176                         // if exec is zero skip loop

/* atomic CAS loop */
label_0175:

/* apply updated masks and issue writes again */
s_mov_b64 exec, s[46:47]                           // must try again
v_mov_b32 v10, v8                                  // dataV+2 = tmp (new original C)
v_mov_b32 v11, v9                                  // dataV+3 = tmp (new original C)
v_add_f64 v[8:9], v[10:11], v[vgprValuC+12:vgprValuC+12+1] // newC = rC + originalC
_buffer_atomic_cmpswap_b64 v[8:11], v6, s[sgprSrdD:sgprSrdD+3] 0 offen offset:0 glc   // attempt write
s_waitcnt vmcnt(0)                                 // wait for atomic writes

/* apply masks and check for success */
s_mov_b64 exec, s[46:47]                           // must try again
v_cmp_ne_u64 s[42:43], v[8:9], v[10:11]            // c read during atomic != c read during prior load
s_and_b64 s[46:47], s[42:43], s[46:47]             // inBounds & must try again

/* or masks to check for exit */
s_mov_b64 s[42:43], 0x0                            // empty mask
s_or_b64 s[42:43], s[46:47], s[42:43]              // or to add threads
s_or_saveexec_b64 s[44:45], s[42:43]               // apply combined mask
s_cbranch_execnz label_0175                        // try again if not complete
label_0176:
s_mov_b64 exec, -1                                 // full mask -> exec
s_nop 0                                            // 1 wait state required when next inst writes vgprs held by previous dwordx4 store inst
/* optSingleColVgpr=0 optSharedColVgpr=0 optSGPRUsage=None optSrdIncForRow=0 */

/******************************************/
/* Global Write Alpha Edge Batch #3 (d1,d0,vc1,vc0) = */
/*    (0,1,0,1:vw1:vaw:1)                 */
/******************************************/

/* calc coords, apply mask, and issue loads (if necessary) */
/* (d1,vc1,d0,vc0)=(0,0,1,1) */
s_mov_b32 s42, 65                                  // coordOffset0 d0=1 vc0=1
_v_add_co_u32 v4, vcc, v0, s42                     // coord0.2: coord0 += d0*sg0*VW + vc0
v_cmp_lt_u32 s[42:43], v4, s[sgprSizeI]            // coord0 < size0
v_cmp_lt_u32 s[46:47], v1, s[sgprSizeJ]            // coord1 < size1
s_and_b64 s[46:47], s[42:43], s[46:47]             // in0 && in1
_v_add_lshl_u32 v6, v3, v4, 0x3                    // scaleToBpe: accumulate d0 lower and *= bpe into Cin addr
v_cndmask_b32 v6, -1, v6, s[46:47]                 // LDD clip if OOB. offset
_buffer_load_b64 v[10:11], v6, s[sgprSrdD:sgprSrdD+3], 0, offen offset:0 // load D (atomic) bpm=8 vaw=1
v_accvgpr_read_b32 v[vgprValuC+12], acc24 // copy acc to vreg[6]
v_accvgpr_read_b32 v[vgprValuC+13], acc25 // copy acc to vreg[7]
s_nop 1                                            // 2 wait states required before reading vgpr

/* rC *= alpha batchElements=[(0, 1, 0, 1)] */
v_mul_f64 v[vgprValuC+12:vgprValuC+12+1], s[sgprAlpha:sgprAlpha+1], v[vgprValuC+12:vgprValuC+12+1] // *= alpha
s_waitcnt vmcnt(0)                                 // wait C (atomic)

/* issue first atomic writes */
s_mov_b64 exec, s[46:47]                           // sgprs -> exec (before atomic)
v_add_f64 v[8:9], v[10:11], v[vgprValuC+12:vgprValuC+12+1] // desired value
_buffer_atomic_cmpswap_b64 v[8:11], v6, s[sgprSrdD:sgprSrdD+3] 0 offen offset:0 glc   // attempt write
s_waitcnt vmcnt(0)                                 // wait for atomic writes

/* check success of writes, update masks */
s_mov_b64 exec, s[46:47]                           // sgprs -> exec
v_cmp_ne_u64 s[42:43], v[8:9], v[10:11]            // c read during atomic != c read during prior load
s_and_b64 s[46:47], s[42:43], s[46:47]             // inBounds & must try again

/* or masks to check for exit */
s_mov_b64 s[42:43], 0x0                            // empty mask
s_or_b64 s[42:43], s[46:47], s[42:43]              // or to add threads
s_or_saveexec_b64 s[44:45], s[42:43]               // apply combined mask
s_cbranch_execz label_0178                         // if exec is zero skip loop

/* atomic CAS loop */
label_0177:

/* apply updated masks and issue writes again */
s_mov_b64 exec, s[46:47]                           // must try again
v_mov_b32 v10, v8                                  // dataV+2 = tmp (new original C)
v_mov_b32 v11, v9                                  // dataV+3 = tmp (new original C)
v_add_f64 v[8:9], v[10:11], v[vgprValuC+12:vgprValuC+12+1] // newC = rC + originalC
_buffer_atomic_cmpswap_b64 v[8:11], v6, s[sgprSrdD:sgprSrdD+3] 0 offen offset:0 glc   // attempt write
s_waitcnt vmcnt(0)                                 // wait for atomic writes

/* apply masks and check for success */
s_mov_b64 exec, s[46:47]                           // must try again
v_cmp_ne_u64 s[42:43], v[8:9], v[10:11]            // c read during atomic != c read during prior load
s_and_b64 s[46:47], s[42:43], s[46:47]             // inBounds & must try again

/* or masks to check for exit */
s_mov_b64 s[42:43], 0x0                            // empty mask
s_or_b64 s[42:43], s[46:47], s[42:43]              // or to add threads
s_or_saveexec_b64 s[44:45], s[42:43]               // apply combined mask
s_cbranch_execnz label_0177                        // try again if not complete
label_0178:
s_mov_b64 exec, -1                                 // full mask -> exec
s_nop 0                                            // 1 wait state required when next inst writes vgprs held by previous dwordx4 store inst
/* optSingleColVgpr=0 optSharedColVgpr=0 optSGPRUsage=None optSrdIncForRow=0 */

/******************************************/
/* Global Write Alpha Edge Batch #4 (d1,d0,vc1,vc0) = */
/*    (1,0,0,0:vw1:vaw:1)                 */
/******************************************/

/* calc coords, apply mask, and issue loads (if necessary) */
/* (d1,vc1,d0,vc0)=(1,0,0,0) */
_v_add_co_u32 v1, vcc, v1, 4                       // coord1.1: coord1Vgpr += d1*sg1*VW + vc1

/* Fix for UseInitialStridesCD, emitAddressSetupCode */
s_mul_i32 s42, s[sgprStrideC1J], 4                 // scale stride
_v_add_u32 v2, v2, s42                             // ROWINC- Move cinRowPtr to next row
s_mul_i32 s42, s[sgprStrideD1J], 4                 // scale stride
_v_add_u32 v3, v3, s42                             // Move coutRowPtr to next row
v_cmp_lt_u32 s[42:43], v0, s[sgprSizeI]            // coord0 < size0
v_cmp_lt_u32 s[46:47], v1, s[sgprSizeJ]            // coord1 < size1
s_and_b64 s[46:47], s[42:43], s[46:47]             // in0 && in1
_v_add_lshl_u32 v6, v3, v0, 0x3                    // scaleToBpe: accumulate d0 lower and *= bpe into Cin addr
v_cndmask_b32 v6, -1, v6, s[46:47]                 // LDD clip if OOB. offset
_buffer_load_b64 v[10:11], v6, s[sgprSrdD:sgprSrdD+3], 0, offen offset:0 // load D (atomic) bpm=8 vaw=1
v_accvgpr_read_b32 v[vgprValuC+12], acc2 // copy acc to vreg[8]
v_accvgpr_read_b32 v[vgprValuC+13], acc3 // copy acc to vreg[9]
s_nop 1                                            // 2 wait states required before reading vgpr

/* rC *= alpha batchElements=[(1, 0, 0, 0)] */
v_mul_f64 v[vgprValuC+12:vgprValuC+12+1], s[sgprAlpha:sgprAlpha+1], v[vgprValuC+12:vgprValuC+12+1] // *= alpha
s_waitcnt vmcnt(0)                                 // wait C (atomic)

/* issue first atomic writes */
s_mov_b64 exec, s[46:47]                           // sgprs -> exec (before atomic)
v_add_f64 v[8:9], v[10:11], v[vgprValuC+12:vgprValuC+12+1] // desired value
_buffer_atomic_cmpswap_b64 v[8:11], v6, s[sgprSrdD:sgprSrdD+3] 0 offen offset:0 glc   // attempt write
s_waitcnt vmcnt(0)                                 // wait for atomic writes

/* check success of writes, update masks */
s_mov_b64 exec, s[46:47]                           // sgprs -> exec
v_cmp_ne_u64 s[42:43], v[8:9], v[10:11]            // c read during atomic != c read during prior load
s_and_b64 s[46:47], s[42:43], s[46:47]             // inBounds & must try again

/* or masks to check for exit */
s_mov_b64 s[42:43], 0x0                            // empty mask
s_or_b64 s[42:43], s[46:47], s[42:43]              // or to add threads
s_or_saveexec_b64 s[44:45], s[42:43]               // apply combined mask
s_cbranch_execz label_0180                         // if exec is zero skip loop

/* atomic CAS loop */
label_0179:

/* apply updated masks and issue writes again */
s_mov_b64 exec, s[46:47]                           // must try again
v_mov_b32 v10, v8                                  // dataV+2 = tmp (new original C)
v_mov_b32 v11, v9                                  // dataV+3 = tmp (new original C)
v_add_f64 v[8:9], v[10:11], v[vgprValuC+12:vgprValuC+12+1] // newC = rC + originalC
_buffer_atomic_cmpswap_b64 v[8:11], v6, s[sgprSrdD:sgprSrdD+3] 0 offen offset:0 glc   // attempt write
s_waitcnt vmcnt(0)                                 // wait for atomic writes

/* apply masks and check for success */
s_mov_b64 exec, s[46:47]                           // must try again
v_cmp_ne_u64 s[42:43], v[8:9], v[10:11]            // c read during atomic != c read during prior load
s_and_b64 s[46:47], s[42:43], s[46:47]             // inBounds & must try again

/* or masks to check for exit */
s_mov_b64 s[42:43], 0x0                            // empty mask
s_or_b64 s[42:43], s[46:47], s[42:43]              // or to add threads
s_or_saveexec_b64 s[44:45], s[42:43]               // apply combined mask
s_cbranch_execnz label_0179                        // try again if not complete
label_0180:
s_mov_b64 exec, -1                                 // full mask -> exec
s_nop 0                                            // 1 wait state required when next inst writes vgprs held by previous dwordx4 store inst
/* optSingleColVgpr=0 optSharedColVgpr=0 optSGPRUsage=None optSrdIncForRow=0 */

/******************************************/
/* Global Write Alpha Edge Batch #5 (d1,d0,vc1,vc0) = */
/*    (1,0,0,1:vw1:vaw:1)                 */
/******************************************/

/* calc coords, apply mask, and issue loads (if necessary) */
/* (d1,vc1,d0,vc0)=(1,0,0,1) */
_v_add_co_u32 v4, vcc, v0, 1                       // coord0.1: coord0 += d0*sg0*VW + vc0
v_cmp_lt_u32 s[42:43], v4, s[sgprSizeI]            // coord0 < size0
v_cmp_lt_u32 s[46:47], v1, s[sgprSizeJ]            // coord1 < size1
s_and_b64 s[46:47], s[42:43], s[46:47]             // in0 && in1
_v_add_lshl_u32 v6, v3, v4, 0x3                    // scaleToBpe: accumulate d0 lower and *= bpe into Cin addr
v_cndmask_b32 v6, -1, v6, s[46:47]                 // LDD clip if OOB. offset
_buffer_load_b64 v[10:11], v6, s[sgprSrdD:sgprSrdD+3], 0, offen offset:0 // load D (atomic) bpm=8 vaw=1
v_accvgpr_read_b32 v[vgprValuC+12], acc10 // copy acc to vreg[10]
v_accvgpr_read_b32 v[vgprValuC+13], acc11 // copy acc to vreg[11]
s_nop 1                                            // 2 wait states required before reading vgpr

/* rC *= alpha batchElements=[(1, 0, 0, 1)] */
v_mul_f64 v[vgprValuC+12:vgprValuC+12+1], s[sgprAlpha:sgprAlpha+1], v[vgprValuC+12:vgprValuC+12+1] // *= alpha
s_waitcnt vmcnt(0)                                 // wait C (atomic)

/* issue first atomic writes */
s_mov_b64 exec, s[46:47]                           // sgprs -> exec (before atomic)
v_add_f64 v[8:9], v[10:11], v[vgprValuC+12:vgprValuC+12+1] // desired value
_buffer_atomic_cmpswap_b64 v[8:11], v6, s[sgprSrdD:sgprSrdD+3] 0 offen offset:0 glc   // attempt write
s_waitcnt vmcnt(0)                                 // wait for atomic writes

/* check success of writes, update masks */
s_mov_b64 exec, s[46:47]                           // sgprs -> exec
v_cmp_ne_u64 s[42:43], v[8:9], v[10:11]            // c read during atomic != c read during prior load
s_and_b64 s[46:47], s[42:43], s[46:47]             // inBounds & must try again

/* or masks to check for exit */
s_mov_b64 s[42:43], 0x0                            // empty mask
s_or_b64 s[42:43], s[46:47], s[42:43]              // or to add threads
s_or_saveexec_b64 s[44:45], s[42:43]               // apply combined mask
s_cbranch_execz label_0182                         // if exec is zero skip loop

/* atomic CAS loop */
label_0181:

/* apply updated masks and issue writes again */
s_mov_b64 exec, s[46:47]                           // must try again
v_mov_b32 v10, v8                                  // dataV+2 = tmp (new original C)
v_mov_b32 v11, v9                                  // dataV+3 = tmp (new original C)
v_add_f64 v[8:9], v[10:11], v[vgprValuC+12:vgprValuC+12+1] // newC = rC + originalC
_buffer_atomic_cmpswap_b64 v[8:11], v6, s[sgprSrdD:sgprSrdD+3] 0 offen offset:0 glc   // attempt write
s_waitcnt vmcnt(0)                                 // wait for atomic writes

/* apply masks and check for success */
s_mov_b64 exec, s[46:47]                           // must try again
v_cmp_ne_u64 s[42:43], v[8:9], v[10:11]            // c read during atomic != c read during prior load
s_and_b64 s[46:47], s[42:43], s[46:47]             // inBounds & must try again

/* or masks to check for exit */
s_mov_b64 s[42:43], 0x0                            // empty mask
s_or_b64 s[42:43], s[46:47], s[42:43]              // or to add threads
s_or_saveexec_b64 s[44:45], s[42:43]               // apply combined mask
s_cbranch_execnz label_0181                        // try again if not complete
label_0182:
s_mov_b64 exec, -1                                 // full mask -> exec
s_nop 0                                            // 1 wait state required when next inst writes vgprs held by previous dwordx4 store inst
/* optSingleColVgpr=0 optSharedColVgpr=0 optSGPRUsage=None optSrdIncForRow=0 */

/******************************************/
/* Global Write Alpha Edge Batch #6 (d1,d0,vc1,vc0) = */
/*    (1,1,0,0:vw1:vaw:1)                 */
/******************************************/

/* calc coords, apply mask, and issue loads (if necessary) */
/* (d1,vc1,d0,vc0)=(1,0,1,0) */
_v_add_co_u32 v4, vcc, v0, 64                      // coord0.1: coord0 += d0*sg0*VW + vc0
v_cmp_lt_u32 s[42:43], v4, s[sgprSizeI]            // coord0 < size0
v_cmp_lt_u32 s[46:47], v1, s[sgprSizeJ]            // coord1 < size1
s_and_b64 s[46:47], s[42:43], s[46:47]             // in0 && in1
_v_add_lshl_u32 v6, v3, v4, 0x3                    // scaleToBpe: accumulate d0 lower and *= bpe into Cin addr
v_cndmask_b32 v6, -1, v6, s[46:47]                 // LDD clip if OOB. offset
_buffer_load_b64 v[10:11], v6, s[sgprSrdD:sgprSrdD+3], 0, offen offset:0 // load D (atomic) bpm=8 vaw=1
v_accvgpr_read_b32 v[vgprValuC+12], acc18 // copy acc to vreg[12]
v_accvgpr_read_b32 v[vgprValuC+13], acc19 // copy acc to vreg[13]
s_nop 1                                            // 2 wait states required before reading vgpr

/* rC *= alpha batchElements=[(1, 1, 0, 0)] */
v_mul_f64 v[vgprValuC+12:vgprValuC+12+1], s[sgprAlpha:sgprAlpha+1], v[vgprValuC+12:vgprValuC+12+1] // *= alpha
s_waitcnt vmcnt(0)                                 // wait C (atomic)

/* issue first atomic writes */
s_mov_b64 exec, s[46:47]                           // sgprs -> exec (before atomic)
v_add_f64 v[8:9], v[10:11], v[vgprValuC+12:vgprValuC+12+1] // desired value
_buffer_atomic_cmpswap_b64 v[8:11], v6, s[sgprSrdD:sgprSrdD+3] 0 offen offset:0 glc   // attempt write
s_waitcnt vmcnt(0)                                 // wait for atomic writes

/* check success of writes, update masks */
s_mov_b64 exec, s[46:47]                           // sgprs -> exec
v_cmp_ne_u64 s[42:43], v[8:9], v[10:11]            // c read during atomic != c read during prior load
s_and_b64 s[46:47], s[42:43], s[46:47]             // inBounds & must try again

/* or masks to check for exit */
s_mov_b64 s[42:43], 0x0                            // empty mask
s_or_b64 s[42:43], s[46:47], s[42:43]              // or to add threads
s_or_saveexec_b64 s[44:45], s[42:43]               // apply combined mask
s_cbranch_execz label_0184                         // if exec is zero skip loop

/* atomic CAS loop */
label_0183:

/* apply updated masks and issue writes again */
s_mov_b64 exec, s[46:47]                           // must try again
v_mov_b32 v10, v8                                  // dataV+2 = tmp (new original C)
v_mov_b32 v11, v9                                  // dataV+3 = tmp (new original C)
v_add_f64 v[8:9], v[10:11], v[vgprValuC+12:vgprValuC+12+1] // newC = rC + originalC
_buffer_atomic_cmpswap_b64 v[8:11], v6, s[sgprSrdD:sgprSrdD+3] 0 offen offset:0 glc   // attempt write
s_waitcnt vmcnt(0)                                 // wait for atomic writes

/* apply masks and check for success */
s_mov_b64 exec, s[46:47]                           // must try again
v_cmp_ne_u64 s[42:43], v[8:9], v[10:11]            // c read during atomic != c read during prior load
s_and_b64 s[46:47], s[42:43], s[46:47]             // inBounds & must try again

/* or masks to check for exit */
s_mov_b64 s[42:43], 0x0                            // empty mask
s_or_b64 s[42:43], s[46:47], s[42:43]              // or to add threads
s_or_saveexec_b64 s[44:45], s[42:43]               // apply combined mask
s_cbranch_execnz label_0183                        // try again if not complete
label_0184:
s_mov_b64 exec, -1                                 // full mask -> exec
s_nop 0                                            // 1 wait state required when next inst writes vgprs held by previous dwordx4 store inst
/* optSingleColVgpr=0 optSharedColVgpr=0 optSGPRUsage=None optSrdIncForRow=0 */

/******************************************/
/* Global Write Alpha Edge Batch #7 (d1,d0,vc1,vc0) = */
/*    (1,1,0,1:vw1:vaw:1)                 */
/******************************************/

/* calc coords, apply mask, and issue loads (if necessary) */
/* (d1,vc1,d0,vc0)=(1,0,1,1) */
s_mov_b32 s42, 65                                  // coordOffset0 d0=1 vc0=1
_v_add_co_u32 v4, vcc, v0, s42                     // coord0.2: coord0 += d0*sg0*VW + vc0
v_cmp_lt_u32 s[42:43], v4, s[sgprSizeI]            // coord0 < size0
v_cmp_lt_u32 s[46:47], v1, s[sgprSizeJ]            // coord1 < size1
s_and_b64 s[46:47], s[42:43], s[46:47]             // in0 && in1
_v_add_lshl_u32 v6, v3, v4, 0x3                    // scaleToBpe: accumulate d0 lower and *= bpe into Cin addr
v_cndmask_b32 v6, -1, v6, s[46:47]                 // LDD clip if OOB. offset
_buffer_load_b64 v[10:11], v6, s[sgprSrdD:sgprSrdD+3], 0, offen offset:0 // load D (atomic) bpm=8 vaw=1
v_accvgpr_read_b32 v[vgprValuC+12], acc26 // copy acc to vreg[14]
v_accvgpr_read_b32 v[vgprValuC+13], acc27 // copy acc to vreg[15]
s_nop 1                                            // 2 wait states required before reading vgpr

/* rC *= alpha batchElements=[(1, 1, 0, 1)] */
v_mul_f64 v[vgprValuC+12:vgprValuC+12+1], s[sgprAlpha:sgprAlpha+1], v[vgprValuC+12:vgprValuC+12+1] // *= alpha
s_waitcnt vmcnt(0)                                 // wait C (atomic)

/* issue first atomic writes */
s_mov_b64 exec, s[46:47]                           // sgprs -> exec (before atomic)
v_add_f64 v[8:9], v[10:11], v[vgprValuC+12:vgprValuC+12+1] // desired value
_buffer_atomic_cmpswap_b64 v[8:11], v6, s[sgprSrdD:sgprSrdD+3] 0 offen offset:0 glc   // attempt write
s_waitcnt vmcnt(0)                                 // wait for atomic writes

/* check success of writes, update masks */
s_mov_b64 exec, s[46:47]                           // sgprs -> exec
v_cmp_ne_u64 s[42:43], v[8:9], v[10:11]            // c read during atomic != c read during prior load
s_and_b64 s[46:47], s[42:43], s[46:47]             // inBounds & must try again

/* or masks to check for exit */
s_mov_b64 s[42:43], 0x0                            // empty mask
s_or_b64 s[42:43], s[46:47], s[42:43]              // or to add threads
s_or_saveexec_b64 s[44:45], s[42:43]               // apply combined mask
s_cbranch_execz label_0186                         // if exec is zero skip loop

/* atomic CAS loop */
label_0185:

/* apply updated masks and issue writes again */
s_mov_b64 exec, s[46:47]                           // must try again
v_mov_b32 v10, v8                                  // dataV+2 = tmp (new original C)
v_mov_b32 v11, v9                                  // dataV+3 = tmp (new original C)
v_add_f64 v[8:9], v[10:11], v[vgprValuC+12:vgprValuC+12+1] // newC = rC + originalC
_buffer_atomic_cmpswap_b64 v[8:11], v6, s[sgprSrdD:sgprSrdD+3] 0 offen offset:0 glc   // attempt write
s_waitcnt vmcnt(0)                                 // wait for atomic writes

/* apply masks and check for success */
s_mov_b64 exec, s[46:47]                           // must try again
v_cmp_ne_u64 s[42:43], v[8:9], v[10:11]            // c read during atomic != c read during prior load
s_and_b64 s[46:47], s[42:43], s[46:47]             // inBounds & must try again

/* or masks to check for exit */
s_mov_b64 s[42:43], 0x0                            // empty mask
s_or_b64 s[42:43], s[46:47], s[42:43]              // or to add threads
s_or_saveexec_b64 s[44:45], s[42:43]               // apply combined mask
s_cbranch_execnz label_0185                        // try again if not complete
label_0186:
s_mov_b64 exec, -1                                 // full mask -> exec
s_nop 0                                            // 1 wait state required when next inst writes vgprs held by previous dwordx4 store inst
/* optSingleColVgpr=0 optSharedColVgpr=0 optSGPRUsage=None optSrdIncForRow=0 */

/******************************************/
/* Global Write Alpha Edge Batch #8 (d1,d0,vc1,vc0) = */
/*    (2,0,0,0:vw1:vaw:1)                 */
/******************************************/

/* calc coords, apply mask, and issue loads (if necessary) */
/* (d1,vc1,d0,vc0)=(2,0,0,0) */
_v_add_co_u32 v1, vcc, v1, 4                       // coord1.1: coord1Vgpr += d1*sg1*VW + vc1

/* Fix for UseInitialStridesCD, emitAddressSetupCode */
s_mul_i32 s42, s[sgprStrideC1J], 4                 // scale stride
_v_add_u32 v2, v2, s42                             // ROWINC- Move cinRowPtr to next row
s_mul_i32 s42, s[sgprStrideD1J], 4                 // scale stride
_v_add_u32 v3, v3, s42                             // Move coutRowPtr to next row
v_cmp_lt_u32 s[42:43], v0, s[sgprSizeI]            // coord0 < size0
v_cmp_lt_u32 s[46:47], v1, s[sgprSizeJ]            // coord1 < size1
s_and_b64 s[46:47], s[42:43], s[46:47]             // in0 && in1
_v_add_lshl_u32 v6, v3, v0, 0x3                    // scaleToBpe: accumulate d0 lower and *= bpe into Cin addr
v_cndmask_b32 v6, -1, v6, s[46:47]                 // LDD clip if OOB. offset
_buffer_load_b64 v[10:11], v6, s[sgprSrdD:sgprSrdD+3], 0, offen offset:0 // load D (atomic) bpm=8 vaw=1
v_accvgpr_read_b32 v[vgprValuC+12], acc4 // copy acc to vreg[16]
v_accvgpr_read_b32 v[vgprValuC+13], acc5 // copy acc to vreg[17]
s_nop 1                                            // 2 wait states required before reading vgpr

/* rC *= alpha batchElements=[(2, 0, 0, 0)] */
v_mul_f64 v[vgprValuC+12:vgprValuC+12+1], s[sgprAlpha:sgprAlpha+1], v[vgprValuC+12:vgprValuC+12+1] // *= alpha
s_waitcnt vmcnt(0)                                 // wait C (atomic)

/* issue first atomic writes */
s_mov_b64 exec, s[46:47]                           // sgprs -> exec (before atomic)
v_add_f64 v[8:9], v[10:11], v[vgprValuC+12:vgprValuC+12+1] // desired value
_buffer_atomic_cmpswap_b64 v[8:11], v6, s[sgprSrdD:sgprSrdD+3] 0 offen offset:0 glc   // attempt write
s_waitcnt vmcnt(0)                                 // wait for atomic writes

/* check success of writes, update masks */
s_mov_b64 exec, s[46:47]                           // sgprs -> exec
v_cmp_ne_u64 s[42:43], v[8:9], v[10:11]            // c read during atomic != c read during prior load
s_and_b64 s[46:47], s[42:43], s[46:47]             // inBounds & must try again

/* or masks to check for exit */
s_mov_b64 s[42:43], 0x0                            // empty mask
s_or_b64 s[42:43], s[46:47], s[42:43]              // or to add threads
s_or_saveexec_b64 s[44:45], s[42:43]               // apply combined mask
s_cbranch_execz label_0188                         // if exec is zero skip loop

/* atomic CAS loop */
label_0187:

/* apply updated masks and issue writes again */
s_mov_b64 exec, s[46:47]                           // must try again
v_mov_b32 v10, v8                                  // dataV+2 = tmp (new original C)
v_mov_b32 v11, v9                                  // dataV+3 = tmp (new original C)
v_add_f64 v[8:9], v[10:11], v[vgprValuC+12:vgprValuC+12+1] // newC = rC + originalC
_buffer_atomic_cmpswap_b64 v[8:11], v6, s[sgprSrdD:sgprSrdD+3] 0 offen offset:0 glc   // attempt write
s_waitcnt vmcnt(0)                                 // wait for atomic writes

/* apply masks and check for success */
s_mov_b64 exec, s[46:47]                           // must try again
v_cmp_ne_u64 s[42:43], v[8:9], v[10:11]            // c read during atomic != c read during prior load
s_and_b64 s[46:47], s[42:43], s[46:47]             // inBounds & must try again

/* or masks to check for exit */
s_mov_b64 s[42:43], 0x0                            // empty mask
s_or_b64 s[42:43], s[46:47], s[42:43]              // or to add threads
s_or_saveexec_b64 s[44:45], s[42:43]               // apply combined mask
s_cbranch_execnz label_0187                        // try again if not complete
label_0188:
s_mov_b64 exec, -1                                 // full mask -> exec
s_nop 0                                            // 1 wait state required when next inst writes vgprs held by previous dwordx4 store inst
/* optSingleColVgpr=0 optSharedColVgpr=0 optSGPRUsage=None optSrdIncForRow=0 */

/******************************************/
/* Global Write Alpha Edge Batch #9 (d1,d0,vc1,vc0) = */
/*    (2,0,0,1:vw1:vaw:1)                 */
/******************************************/

/* calc coords, apply mask, and issue loads (if necessary) */
/* (d1,vc1,d0,vc0)=(2,0,0,1) */
_v_add_co_u32 v4, vcc, v0, 1                       // coord0.1: coord0 += d0*sg0*VW + vc0
v_cmp_lt_u32 s[42:43], v4, s[sgprSizeI]            // coord0 < size0
v_cmp_lt_u32 s[46:47], v1, s[sgprSizeJ]            // coord1 < size1
s_and_b64 s[46:47], s[42:43], s[46:47]             // in0 && in1
_v_add_lshl_u32 v6, v3, v4, 0x3                    // scaleToBpe: accumulate d0 lower and *= bpe into Cin addr
v_cndmask_b32 v6, -1, v6, s[46:47]                 // LDD clip if OOB. offset
_buffer_load_b64 v[10:11], v6, s[sgprSrdD:sgprSrdD+3], 0, offen offset:0 // load D (atomic) bpm=8 vaw=1
v_accvgpr_read_b32 v[vgprValuC+12], acc12 // copy acc to vreg[18]
v_accvgpr_read_b32 v[vgprValuC+13], acc13 // copy acc to vreg[19]
s_nop 1                                            // 2 wait states required before reading vgpr

/* rC *= alpha batchElements=[(2, 0, 0, 1)] */
v_mul_f64 v[vgprValuC+12:vgprValuC+12+1], s[sgprAlpha:sgprAlpha+1], v[vgprValuC+12:vgprValuC+12+1] // *= alpha
s_waitcnt vmcnt(0)                                 // wait C (atomic)

/* issue first atomic writes */
s_mov_b64 exec, s[46:47]                           // sgprs -> exec (before atomic)
v_add_f64 v[8:9], v[10:11], v[vgprValuC+12:vgprValuC+12+1] // desired value
_buffer_atomic_cmpswap_b64 v[8:11], v6, s[sgprSrdD:sgprSrdD+3] 0 offen offset:0 glc   // attempt write
s_waitcnt vmcnt(0)                                 // wait for atomic writes

/* check success of writes, update masks */
s_mov_b64 exec, s[46:47]                           // sgprs -> exec
v_cmp_ne_u64 s[42:43], v[8:9], v[10:11]            // c read during atomic != c read during prior load
s_and_b64 s[46:47], s[42:43], s[46:47]             // inBounds & must try again

/* or masks to check for exit */
s_mov_b64 s[42:43], 0x0                            // empty mask
s_or_b64 s[42:43], s[46:47], s[42:43]              // or to add threads
s_or_saveexec_b64 s[44:45], s[42:43]               // apply combined mask
s_cbranch_execz label_0190                         // if exec is zero skip loop

/* atomic CAS loop */
label_0189:

/* apply updated masks and issue writes again */
s_mov_b64 exec, s[46:47]                           // must try again
v_mov_b32 v10, v8                                  // dataV+2 = tmp (new original C)
v_mov_b32 v11, v9                                  // dataV+3 = tmp (new original C)
v_add_f64 v[8:9], v[10:11], v[vgprValuC+12:vgprValuC+12+1] // newC = rC + originalC
_buffer_atomic_cmpswap_b64 v[8:11], v6, s[sgprSrdD:sgprSrdD+3] 0 offen offset:0 glc   // attempt write
s_waitcnt vmcnt(0)                                 // wait for atomic writes

/* apply masks and check for success */
s_mov_b64 exec, s[46:47]                           // must try again
v_cmp_ne_u64 s[42:43], v[8:9], v[10:11]            // c read during atomic != c read during prior load
s_and_b64 s[46:47], s[42:43], s[46:47]             // inBounds & must try again

/* or masks to check for exit */
s_mov_b64 s[42:43], 0x0                            // empty mask
s_or_b64 s[42:43], s[46:47], s[42:43]              // or to add threads
s_or_saveexec_b64 s[44:45], s[42:43]               // apply combined mask
s_cbranch_execnz label_0189                        // try again if not complete
label_0190:
s_mov_b64 exec, -1                                 // full mask -> exec
s_nop 0                                            // 1 wait state required when next inst writes vgprs held by previous dwordx4 store inst
/* optSingleColVgpr=0 optSharedColVgpr=0 optSGPRUsage=None optSrdIncForRow=0 */

/******************************************/
/* Global Write Alpha Edge Batch #10 (d1,d0,vc1,vc0) = */
/*    (2,1,0,0:vw1:vaw:1)                 */
/******************************************/

/* calc coords, apply mask, and issue loads (if necessary) */
/* (d1,vc1,d0,vc0)=(2,0,1,0) */
_v_add_co_u32 v4, vcc, v0, 64                      // coord0.1: coord0 += d0*sg0*VW + vc0
v_cmp_lt_u32 s[42:43], v4, s[sgprSizeI]            // coord0 < size0
v_cmp_lt_u32 s[46:47], v1, s[sgprSizeJ]            // coord1 < size1
s_and_b64 s[46:47], s[42:43], s[46:47]             // in0 && in1
_v_add_lshl_u32 v6, v3, v4, 0x3                    // scaleToBpe: accumulate d0 lower and *= bpe into Cin addr
v_cndmask_b32 v6, -1, v6, s[46:47]                 // LDD clip if OOB. offset
_buffer_load_b64 v[10:11], v6, s[sgprSrdD:sgprSrdD+3], 0, offen offset:0 // load D (atomic) bpm=8 vaw=1
v_accvgpr_read_b32 v[vgprValuC+12], acc20 // copy acc to vreg[20]
v_accvgpr_read_b32 v[vgprValuC+13], acc21 // copy acc to vreg[21]
s_nop 1                                            // 2 wait states required before reading vgpr

/* rC *= alpha batchElements=[(2, 1, 0, 0)] */
v_mul_f64 v[vgprValuC+12:vgprValuC+12+1], s[sgprAlpha:sgprAlpha+1], v[vgprValuC+12:vgprValuC+12+1] // *= alpha
s_waitcnt vmcnt(0)                                 // wait C (atomic)

/* issue first atomic writes */
s_mov_b64 exec, s[46:47]                           // sgprs -> exec (before atomic)
v_add_f64 v[8:9], v[10:11], v[vgprValuC+12:vgprValuC+12+1] // desired value
_buffer_atomic_cmpswap_b64 v[8:11], v6, s[sgprSrdD:sgprSrdD+3] 0 offen offset:0 glc   // attempt write
s_waitcnt vmcnt(0)                                 // wait for atomic writes

/* check success of writes, update masks */
s_mov_b64 exec, s[46:47]                           // sgprs -> exec
v_cmp_ne_u64 s[42:43], v[8:9], v[10:11]            // c read during atomic != c read during prior load
s_and_b64 s[46:47], s[42:43], s[46:47]             // inBounds & must try again

/* or masks to check for exit */
s_mov_b64 s[42:43], 0x0                            // empty mask
s_or_b64 s[42:43], s[46:47], s[42:43]              // or to add threads
s_or_saveexec_b64 s[44:45], s[42:43]               // apply combined mask
s_cbranch_execz label_0192                         // if exec is zero skip loop

/* atomic CAS loop */
label_0191:

/* apply updated masks and issue writes again */
s_mov_b64 exec, s[46:47]                           // must try again
v_mov_b32 v10, v8                                  // dataV+2 = tmp (new original C)
v_mov_b32 v11, v9                                  // dataV+3 = tmp (new original C)
v_add_f64 v[8:9], v[10:11], v[vgprValuC+12:vgprValuC+12+1] // newC = rC + originalC
_buffer_atomic_cmpswap_b64 v[8:11], v6, s[sgprSrdD:sgprSrdD+3] 0 offen offset:0 glc   // attempt write
s_waitcnt vmcnt(0)                                 // wait for atomic writes

/* apply masks and check for success */
s_mov_b64 exec, s[46:47]                           // must try again
v_cmp_ne_u64 s[42:43], v[8:9], v[10:11]            // c read during atomic != c read during prior load
s_and_b64 s[46:47], s[42:43], s[46:47]             // inBounds & must try again

/* or masks to check for exit */
s_mov_b64 s[42:43], 0x0                            // empty mask
s_or_b64 s[42:43], s[46:47], s[42:43]              // or to add threads
s_or_saveexec_b64 s[44:45], s[42:43]               // apply combined mask
s_cbranch_execnz label_0191                        // try again if not complete
label_0192:
s_mov_b64 exec, -1                                 // full mask -> exec
s_nop 0                                            // 1 wait state required when next inst writes vgprs held by previous dwordx4 store inst
/* optSingleColVgpr=0 optSharedColVgpr=0 optSGPRUsage=None optSrdIncForRow=0 */

/******************************************/
/* Global Write Alpha Edge Batch #11 (d1,d0,vc1,vc0) = */
/*    (2,1,0,1:vw1:vaw:1)                 */
/******************************************/

/* calc coords, apply mask, and issue loads (if necessary) */
/* (d1,vc1,d0,vc0)=(2,0,1,1) */
s_mov_b32 s42, 65                                  // coordOffset0 d0=1 vc0=1
_v_add_co_u32 v4, vcc, v0, s42                     // coord0.2: coord0 += d0*sg0*VW + vc0
v_cmp_lt_u32 s[42:43], v4, s[sgprSizeI]            // coord0 < size0
v_cmp_lt_u32 s[46:47], v1, s[sgprSizeJ]            // coord1 < size1
s_and_b64 s[46:47], s[42:43], s[46:47]             // in0 && in1
_v_add_lshl_u32 v6, v3, v4, 0x3                    // scaleToBpe: accumulate d0 lower and *= bpe into Cin addr
v_cndmask_b32 v6, -1, v6, s[46:47]                 // LDD clip if OOB. offset
_buffer_load_b64 v[10:11], v6, s[sgprSrdD:sgprSrdD+3], 0, offen offset:0 // load D (atomic) bpm=8 vaw=1
v_accvgpr_read_b32 v[vgprValuC+12], acc28 // copy acc to vreg[22]
v_accvgpr_read_b32 v[vgprValuC+13], acc29 // copy acc to vreg[23]
s_nop 1                                            // 2 wait states required before reading vgpr

/* rC *= alpha batchElements=[(2, 1, 0, 1)] */
v_mul_f64 v[vgprValuC+12:vgprValuC+12+1], s[sgprAlpha:sgprAlpha+1], v[vgprValuC+12:vgprValuC+12+1] // *= alpha
s_waitcnt vmcnt(0)                                 // wait C (atomic)

/* issue first atomic writes */
s_mov_b64 exec, s[46:47]                           // sgprs -> exec (before atomic)
v_add_f64 v[8:9], v[10:11], v[vgprValuC+12:vgprValuC+12+1] // desired value
_buffer_atomic_cmpswap_b64 v[8:11], v6, s[sgprSrdD:sgprSrdD+3] 0 offen offset:0 glc   // attempt write
s_waitcnt vmcnt(0)                                 // wait for atomic writes

/* check success of writes, update masks */
s_mov_b64 exec, s[46:47]                           // sgprs -> exec
v_cmp_ne_u64 s[42:43], v[8:9], v[10:11]            // c read during atomic != c read during prior load
s_and_b64 s[46:47], s[42:43], s[46:47]             // inBounds & must try again

/* or masks to check for exit */
s_mov_b64 s[42:43], 0x0                            // empty mask
s_or_b64 s[42:43], s[46:47], s[42:43]              // or to add threads
s_or_saveexec_b64 s[44:45], s[42:43]               // apply combined mask
s_cbranch_execz label_0194                         // if exec is zero skip loop

/* atomic CAS loop */
label_0193:

/* apply updated masks and issue writes again */
s_mov_b64 exec, s[46:47]                           // must try again
v_mov_b32 v10, v8                                  // dataV+2 = tmp (new original C)
v_mov_b32 v11, v9                                  // dataV+3 = tmp (new original C)
v_add_f64 v[8:9], v[10:11], v[vgprValuC+12:vgprValuC+12+1] // newC = rC + originalC
_buffer_atomic_cmpswap_b64 v[8:11], v6, s[sgprSrdD:sgprSrdD+3] 0 offen offset:0 glc   // attempt write
s_waitcnt vmcnt(0)                                 // wait for atomic writes

/* apply masks and check for success */
s_mov_b64 exec, s[46:47]                           // must try again
v_cmp_ne_u64 s[42:43], v[8:9], v[10:11]            // c read during atomic != c read during prior load
s_and_b64 s[46:47], s[42:43], s[46:47]             // inBounds & must try again

/* or masks to check for exit */
s_mov_b64 s[42:43], 0x0                            // empty mask
s_or_b64 s[42:43], s[46:47], s[42:43]              // or to add threads
s_or_saveexec_b64 s[44:45], s[42:43]               // apply combined mask
s_cbranch_execnz label_0193                        // try again if not complete
label_0194:
s_mov_b64 exec, -1                                 // full mask -> exec
s_nop 0                                            // 1 wait state required when next inst writes vgprs held by previous dwordx4 store inst
/* optSingleColVgpr=0 optSharedColVgpr=0 optSGPRUsage=None optSrdIncForRow=0 */

/******************************************/
/* Global Write Alpha Edge Batch #12 (d1,d0,vc1,vc0) = */
/*    (3,0,0,0:vw1:vaw:1)                 */
/******************************************/

/* calc coords, apply mask, and issue loads (if necessary) */
/* (d1,vc1,d0,vc0)=(3,0,0,0) */
_v_add_co_u32 v1, vcc, v1, 4                       // coord1.1: coord1Vgpr += d1*sg1*VW + vc1

/* Fix for UseInitialStridesCD, emitAddressSetupCode */
s_mul_i32 s42, s[sgprStrideC1J], 4                 // scale stride
_v_add_u32 v2, v2, s42                             // ROWINC- Move cinRowPtr to next row
s_mul_i32 s42, s[sgprStrideD1J], 4                 // scale stride
_v_add_u32 v3, v3, s42                             // Move coutRowPtr to next row
v_cmp_lt_u32 s[42:43], v0, s[sgprSizeI]            // coord0 < size0
v_cmp_lt_u32 s[46:47], v1, s[sgprSizeJ]            // coord1 < size1
s_and_b64 s[46:47], s[42:43], s[46:47]             // in0 && in1
_v_add_lshl_u32 v6, v3, v0, 0x3                    // scaleToBpe: accumulate d0 lower and *= bpe into Cin addr
v_cndmask_b32 v6, -1, v6, s[46:47]                 // LDD clip if OOB. offset
_buffer_load_b64 v[10:11], v6, s[sgprSrdD:sgprSrdD+3], 0, offen offset:0 // load D (atomic) bpm=8 vaw=1
v_accvgpr_read_b32 v[vgprValuC+12], acc6 // copy acc to vreg[24]
v_accvgpr_read_b32 v[vgprValuC+13], acc7 // copy acc to vreg[25]
s_nop 1                                            // 2 wait states required before reading vgpr

/* rC *= alpha batchElements=[(3, 0, 0, 0)] */
v_mul_f64 v[vgprValuC+12:vgprValuC+12+1], s[sgprAlpha:sgprAlpha+1], v[vgprValuC+12:vgprValuC+12+1] // *= alpha
s_waitcnt vmcnt(0)                                 // wait C (atomic)

/* issue first atomic writes */
s_mov_b64 exec, s[46:47]                           // sgprs -> exec (before atomic)
v_add_f64 v[8:9], v[10:11], v[vgprValuC+12:vgprValuC+12+1] // desired value
_buffer_atomic_cmpswap_b64 v[8:11], v6, s[sgprSrdD:sgprSrdD+3] 0 offen offset:0 glc   // attempt write
s_waitcnt vmcnt(0)                                 // wait for atomic writes

/* check success of writes, update masks */
s_mov_b64 exec, s[46:47]                           // sgprs -> exec
v_cmp_ne_u64 s[42:43], v[8:9], v[10:11]            // c read during atomic != c read during prior load
s_and_b64 s[46:47], s[42:43], s[46:47]             // inBounds & must try again

/* or masks to check for exit */
s_mov_b64 s[42:43], 0x0                            // empty mask
s_or_b64 s[42:43], s[46:47], s[42:43]              // or to add threads
s_or_saveexec_b64 s[44:45], s[42:43]               // apply combined mask
s_cbranch_execz label_0196                         // if exec is zero skip loop

/* atomic CAS loop */
label_0195:

/* apply updated masks and issue writes again */
s_mov_b64 exec, s[46:47]                           // must try again
v_mov_b32 v10, v8                                  // dataV+2 = tmp (new original C)
v_mov_b32 v11, v9                                  // dataV+3 = tmp (new original C)
v_add_f64 v[8:9], v[10:11], v[vgprValuC+12:vgprValuC+12+1] // newC = rC + originalC
_buffer_atomic_cmpswap_b64 v[8:11], v6, s[sgprSrdD:sgprSrdD+3] 0 offen offset:0 glc   // attempt write
s_waitcnt vmcnt(0)                                 // wait for atomic writes

/* apply masks and check for success */
s_mov_b64 exec, s[46:47]                           // must try again
v_cmp_ne_u64 s[42:43], v[8:9], v[10:11]            // c read during atomic != c read during prior load
s_and_b64 s[46:47], s[42:43], s[46:47]             // inBounds & must try again

/* or masks to check for exit */
s_mov_b64 s[42:43], 0x0                            // empty mask
s_or_b64 s[42:43], s[46:47], s[42:43]              // or to add threads
s_or_saveexec_b64 s[44:45], s[42:43]               // apply combined mask
s_cbranch_execnz label_0195                        // try again if not complete
label_0196:
s_mov_b64 exec, -1                                 // full mask -> exec
s_nop 0                                            // 1 wait state required when next inst writes vgprs held by previous dwordx4 store inst
/* optSingleColVgpr=0 optSharedColVgpr=0 optSGPRUsage=None optSrdIncForRow=0 */

/******************************************/
/* Global Write Alpha Edge Batch #13 (d1,d0,vc1,vc0) = */
/*    (3,0,0,1:vw1:vaw:1)                 */
/******************************************/

/* calc coords, apply mask, and issue loads (if necessary) */
/* (d1,vc1,d0,vc0)=(3,0,0,1) */
_v_add_co_u32 v4, vcc, v0, 1                       // coord0.1: coord0 += d0*sg0*VW + vc0
v_cmp_lt_u32 s[42:43], v4, s[sgprSizeI]            // coord0 < size0
v_cmp_lt_u32 s[46:47], v1, s[sgprSizeJ]            // coord1 < size1
s_and_b64 s[46:47], s[42:43], s[46:47]             // in0 && in1
_v_add_lshl_u32 v6, v3, v4, 0x3                    // scaleToBpe: accumulate d0 lower and *= bpe into Cin addr
v_cndmask_b32 v6, -1, v6, s[46:47]                 // LDD clip if OOB. offset
_buffer_load_b64 v[10:11], v6, s[sgprSrdD:sgprSrdD+3], 0, offen offset:0 // load D (atomic) bpm=8 vaw=1
v_accvgpr_read_b32 v[vgprValuC+12], acc14 // copy acc to vreg[26]
v_accvgpr_read_b32 v[vgprValuC+13], acc15 // copy acc to vreg[27]
s_nop 1                                            // 2 wait states required before reading vgpr

/* rC *= alpha batchElements=[(3, 0, 0, 1)] */
v_mul_f64 v[vgprValuC+12:vgprValuC+12+1], s[sgprAlpha:sgprAlpha+1], v[vgprValuC+12:vgprValuC+12+1] // *= alpha
s_waitcnt vmcnt(0)                                 // wait C (atomic)

/* issue first atomic writes */
s_mov_b64 exec, s[46:47]                           // sgprs -> exec (before atomic)
v_add_f64 v[8:9], v[10:11], v[vgprValuC+12:vgprValuC+12+1] // desired value
_buffer_atomic_cmpswap_b64 v[8:11], v6, s[sgprSrdD:sgprSrdD+3] 0 offen offset:0 glc   // attempt write
s_waitcnt vmcnt(0)                                 // wait for atomic writes

/* check success of writes, update masks */
s_mov_b64 exec, s[46:47]                           // sgprs -> exec
v_cmp_ne_u64 s[42:43], v[8:9], v[10:11]            // c read during atomic != c read during prior load
s_and_b64 s[46:47], s[42:43], s[46:47]             // inBounds & must try again

/* or masks to check for exit */
s_mov_b64 s[42:43], 0x0                            // empty mask
s_or_b64 s[42:43], s[46:47], s[42:43]              // or to add threads
s_or_saveexec_b64 s[44:45], s[42:43]               // apply combined mask
s_cbranch_execz label_0198                         // if exec is zero skip loop

/* atomic CAS loop */
label_0197:

/* apply updated masks and issue writes again */
s_mov_b64 exec, s[46:47]                           // must try again
v_mov_b32 v10, v8                                  // dataV+2 = tmp (new original C)
v_mov_b32 v11, v9                                  // dataV+3 = tmp (new original C)
v_add_f64 v[8:9], v[10:11], v[vgprValuC+12:vgprValuC+12+1] // newC = rC + originalC
_buffer_atomic_cmpswap_b64 v[8:11], v6, s[sgprSrdD:sgprSrdD+3] 0 offen offset:0 glc   // attempt write
s_waitcnt vmcnt(0)                                 // wait for atomic writes

/* apply masks and check for success */
s_mov_b64 exec, s[46:47]                           // must try again
v_cmp_ne_u64 s[42:43], v[8:9], v[10:11]            // c read during atomic != c read during prior load
s_and_b64 s[46:47], s[42:43], s[46:47]             // inBounds & must try again

/* or masks to check for exit */
s_mov_b64 s[42:43], 0x0                            // empty mask
s_or_b64 s[42:43], s[46:47], s[42:43]              // or to add threads
s_or_saveexec_b64 s[44:45], s[42:43]               // apply combined mask
s_cbranch_execnz label_0197                        // try again if not complete
label_0198:
s_mov_b64 exec, -1                                 // full mask -> exec
s_nop 0                                            // 1 wait state required when next inst writes vgprs held by previous dwordx4 store inst
/* optSingleColVgpr=0 optSharedColVgpr=0 optSGPRUsage=None optSrdIncForRow=0 */

/******************************************/
/* Global Write Alpha Edge Batch #14 (d1,d0,vc1,vc0) = */
/*    (3,1,0,0:vw1:vaw:1)                 */
/******************************************/

/* calc coords, apply mask, and issue loads (if necessary) */
/* (d1,vc1,d0,vc0)=(3,0,1,0) */
_v_add_co_u32 v4, vcc, v0, 64                      // coord0.1: coord0 += d0*sg0*VW + vc0
v_cmp_lt_u32 s[42:43], v4, s[sgprSizeI]            // coord0 < size0
v_cmp_lt_u32 s[46:47], v1, s[sgprSizeJ]            // coord1 < size1
s_and_b64 s[46:47], s[42:43], s[46:47]             // in0 && in1
_v_add_lshl_u32 v6, v3, v4, 0x3                    // scaleToBpe: accumulate d0 lower and *= bpe into Cin addr
v_cndmask_b32 v6, -1, v6, s[46:47]                 // LDD clip if OOB. offset
_buffer_load_b64 v[10:11], v6, s[sgprSrdD:sgprSrdD+3], 0, offen offset:0 // load D (atomic) bpm=8 vaw=1
v_accvgpr_read_b32 v[vgprValuC+12], acc22 // copy acc to vreg[28]
v_accvgpr_read_b32 v[vgprValuC+13], acc23 // copy acc to vreg[29]
s_nop 1                                            // 2 wait states required before reading vgpr

/* rC *= alpha batchElements=[(3, 1, 0, 0)] */
v_mul_f64 v[vgprValuC+12:vgprValuC+12+1], s[sgprAlpha:sgprAlpha+1], v[vgprValuC+12:vgprValuC+12+1] // *= alpha
s_waitcnt vmcnt(0)                                 // wait C (atomic)

/* issue first atomic writes */
s_mov_b64 exec, s[46:47]                           // sgprs -> exec (before atomic)
v_add_f64 v[8:9], v[10:11], v[vgprValuC+12:vgprValuC+12+1] // desired value
_buffer_atomic_cmpswap_b64 v[8:11], v6, s[sgprSrdD:sgprSrdD+3] 0 offen offset:0 glc   // attempt write
s_waitcnt vmcnt(0)                                 // wait for atomic writes

/* check success of writes, update masks */
s_mov_b64 exec, s[46:47]                           // sgprs -> exec
v_cmp_ne_u64 s[42:43], v[8:9], v[10:11]            // c read during atomic != c read during prior load
s_and_b64 s[46:47], s[42:43], s[46:47]             // inBounds & must try again

/* or masks to check for exit */
s_mov_b64 s[42:43], 0x0                            // empty mask
s_or_b64 s[42:43], s[46:47], s[42:43]              // or to add threads
s_or_saveexec_b64 s[44:45], s[42:43]               // apply combined mask
s_cbranch_execz label_0200                         // if exec is zero skip loop

/* atomic CAS loop */
label_0199:

/* apply updated masks and issue writes again */
s_mov_b64 exec, s[46:47]                           // must try again
v_mov_b32 v10, v8                                  // dataV+2 = tmp (new original C)
v_mov_b32 v11, v9                                  // dataV+3 = tmp (new original C)
v_add_f64 v[8:9], v[10:11], v[vgprValuC+12:vgprValuC+12+1] // newC = rC + originalC
_buffer_atomic_cmpswap_b64 v[8:11], v6, s[sgprSrdD:sgprSrdD+3] 0 offen offset:0 glc   // attempt write
s_waitcnt vmcnt(0)                                 // wait for atomic writes

/* apply masks and check for success */
s_mov_b64 exec, s[46:47]                           // must try again
v_cmp_ne_u64 s[42:43], v[8:9], v[10:11]            // c read during atomic != c read during prior load
s_and_b64 s[46:47], s[42:43], s[46:47]             // inBounds & must try again

/* or masks to check for exit */
s_mov_b64 s[42:43], 0x0                            // empty mask
s_or_b64 s[42:43], s[46:47], s[42:43]              // or to add threads
s_or_saveexec_b64 s[44:45], s[42:43]               // apply combined mask
s_cbranch_execnz label_0199                        // try again if not complete
label_0200:
s_mov_b64 exec, -1                                 // full mask -> exec
s_nop 0                                            // 1 wait state required when next inst writes vgprs held by previous dwordx4 store inst
/* optSingleColVgpr=0 optSharedColVgpr=0 optSGPRUsage=None optSrdIncForRow=0 */

/******************************************/
/* Global Write Alpha Edge Batch #15 (d1,d0,vc1,vc0) = */
/*    (3,1,0,1:vw1:vaw:1)                 */
/******************************************/

/* calc coords, apply mask, and issue loads (if necessary) */
/* (d1,vc1,d0,vc0)=(3,0,1,1) */
s_mov_b32 s42, 65                                  // coordOffset0 d0=1 vc0=1
_v_add_co_u32 v4, vcc, v0, s42                     // coord0.2: coord0 += d0*sg0*VW + vc0
v_cmp_lt_u32 s[42:43], v4, s[sgprSizeI]            // coord0 < size0
v_cmp_lt_u32 s[46:47], v1, s[sgprSizeJ]            // coord1 < size1
s_and_b64 s[46:47], s[42:43], s[46:47]             // in0 && in1
_v_add_lshl_u32 v6, v3, v4, 0x3                    // scaleToBpe: accumulate d0 lower and *= bpe into Cin addr
v_cndmask_b32 v6, -1, v6, s[46:47]                 // LDD clip if OOB. offset
_buffer_load_b64 v[10:11], v6, s[sgprSrdD:sgprSrdD+3], 0, offen offset:0 // load D (atomic) bpm=8 vaw=1
v_accvgpr_read_b32 v[vgprValuC+12], acc30 // copy acc to vreg[30]
v_accvgpr_read_b32 v[vgprValuC+13], acc31 // copy acc to vreg[31]
s_nop 1                                            // 2 wait states required before reading vgpr

/* rC *= alpha batchElements=[(3, 1, 0, 1)] */
v_mul_f64 v[vgprValuC+12:vgprValuC+12+1], s[sgprAlpha:sgprAlpha+1], v[vgprValuC+12:vgprValuC+12+1] // *= alpha
s_waitcnt vmcnt(0)                                 // wait C (atomic)

/* issue first atomic writes */
s_mov_b64 exec, s[46:47]                           // sgprs -> exec (before atomic)
v_add_f64 v[8:9], v[10:11], v[vgprValuC+12:vgprValuC+12+1] // desired value
_buffer_atomic_cmpswap_b64 v[8:11], v6, s[sgprSrdD:sgprSrdD+3] 0 offen offset:0 glc   // attempt write
s_waitcnt vmcnt(0)                                 // wait for atomic writes

/* check success of writes, update masks */
s_mov_b64 exec, s[46:47]                           // sgprs -> exec
v_cmp_ne_u64 s[42:43], v[8:9], v[10:11]            // c read during atomic != c read during prior load
s_and_b64 s[46:47], s[42:43], s[46:47]             // inBounds & must try again

/* or masks to check for exit */
s_mov_b64 s[42:43], 0x0                            // empty mask
s_or_b64 s[42:43], s[46:47], s[42:43]              // or to add threads
s_or_saveexec_b64 s[44:45], s[42:43]               // apply combined mask
s_cbranch_execz label_0202                         // if exec is zero skip loop

/* atomic CAS loop */
label_0201:

/* apply updated masks and issue writes again */
s_mov_b64 exec, s[46:47]                           // must try again
v_mov_b32 v10, v8                                  // dataV+2 = tmp (new original C)
v_mov_b32 v11, v9                                  // dataV+3 = tmp (new original C)
v_add_f64 v[8:9], v[10:11], v[vgprValuC+12:vgprValuC+12+1] // newC = rC + originalC
_buffer_atomic_cmpswap_b64 v[8:11], v6, s[sgprSrdD:sgprSrdD+3] 0 offen offset:0 glc   // attempt write
s_waitcnt vmcnt(0)                                 // wait for atomic writes

/* apply masks and check for success */
s_mov_b64 exec, s[46:47]                           // must try again
v_cmp_ne_u64 s[42:43], v[8:9], v[10:11]            // c read during atomic != c read during prior load
s_and_b64 s[46:47], s[42:43], s[46:47]             // inBounds & must try again

/* or masks to check for exit */
s_mov_b64 s[42:43], 0x0                            // empty mask
s_or_b64 s[42:43], s[46:47], s[42:43]              // or to add threads
s_or_saveexec_b64 s[44:45], s[42:43]               // apply combined mask
s_cbranch_execnz label_0201                        // try again if not complete
label_0202:
s_mov_b64 exec, -1                                 // full mask -> exec
s_nop 0                                            // 1 wait state required when next inst writes vgprs held by previous dwordx4 store inst
/* optSingleColVgpr=0 optSharedColVgpr=0 optSGPRUsage=None optSrdIncForRow=0 */

/******************************************/
/* Global Write Alpha Edge Batch #16 (d1,d0,vc1,vc0) = */
/*    (4,0,0,0:vw1:vaw:1)                 */
/******************************************/

/* calc coords, apply mask, and issue loads (if necessary) */
/* (d1,vc1,d0,vc0)=(4,0,0,0) */
_v_add_co_u32 v1, vcc, v1, 20                      // coord1.1: coord1Vgpr += d1*sg1*VW + vc1

/* Fix for UseInitialStridesCD, emitAddressSetupCode */
s_mul_i32 s42, s[sgprStrideC1J], 20                // scale stride
_v_add_u32 v2, v2, s42                             // ROWINC- Move cinRowPtr to next row
s_mul_i32 s42, s[sgprStrideD1J], 20                // scale stride
_v_add_u32 v3, v3, s42                             // Move coutRowPtr to next row
v_cmp_lt_u32 s[42:43], v0, s[sgprSizeI]            // coord0 < size0
v_cmp_lt_u32 s[46:47], v1, s[sgprSizeJ]            // coord1 < size1
s_and_b64 s[46:47], s[42:43], s[46:47]             // in0 && in1
_v_add_lshl_u32 v6, v3, v0, 0x3                    // scaleToBpe: accumulate d0 lower and *= bpe into Cin addr
v_cndmask_b32 v6, -1, v6, s[46:47]                 // LDD clip if OOB. offset
_buffer_load_b64 v[10:11], v6, s[sgprSrdD:sgprSrdD+3], 0, offen offset:0 // load D (atomic) bpm=8 vaw=1
v_accvgpr_read_b32 v[vgprValuC+12], acc32 // copy acc to vreg[32]
v_accvgpr_read_b32 v[vgprValuC+13], acc33 // copy acc to vreg[33]
s_nop 1                                            // 2 wait states required before reading vgpr

/* rC *= alpha batchElements=[(4, 0, 0, 0)] */
v_mul_f64 v[vgprValuC+12:vgprValuC+12+1], s[sgprAlpha:sgprAlpha+1], v[vgprValuC+12:vgprValuC+12+1] // *= alpha
s_waitcnt vmcnt(0)                                 // wait C (atomic)

/* issue first atomic writes */
s_mov_b64 exec, s[46:47]                           // sgprs -> exec (before atomic)
v_add_f64 v[8:9], v[10:11], v[vgprValuC+12:vgprValuC+12+1] // desired value
_buffer_atomic_cmpswap_b64 v[8:11], v6, s[sgprSrdD:sgprSrdD+3] 0 offen offset:0 glc   // attempt write
s_waitcnt vmcnt(0)                                 // wait for atomic writes

/* check success of writes, update masks */
s_mov_b64 exec, s[46:47]                           // sgprs -> exec
v_cmp_ne_u64 s[42:43], v[8:9], v[10:11]            // c read during atomic != c read during prior load
s_and_b64 s[46:47], s[42:43], s[46:47]             // inBounds & must try again

/* or masks to check for exit */
s_mov_b64 s[42:43], 0x0                            // empty mask
s_or_b64 s[42:43], s[46:47], s[42:43]              // or to add threads
s_or_saveexec_b64 s[44:45], s[42:43]               // apply combined mask
s_cbranch_execz label_0204                         // if exec is zero skip loop

/* atomic CAS loop */
label_0203:

/* apply updated masks and issue writes again */
s_mov_b64 exec, s[46:47]                           // must try again
v_mov_b32 v10, v8                                  // dataV+2 = tmp (new original C)
v_mov_b32 v11, v9                                  // dataV+3 = tmp (new original C)
v_add_f64 v[8:9], v[10:11], v[vgprValuC+12:vgprValuC+12+1] // newC = rC + originalC
_buffer_atomic_cmpswap_b64 v[8:11], v6, s[sgprSrdD:sgprSrdD+3] 0 offen offset:0 glc   // attempt write
s_waitcnt vmcnt(0)                                 // wait for atomic writes

/* apply masks and check for success */
s_mov_b64 exec, s[46:47]                           // must try again
v_cmp_ne_u64 s[42:43], v[8:9], v[10:11]            // c read during atomic != c read during prior load
s_and_b64 s[46:47], s[42:43], s[46:47]             // inBounds & must try again

/* or masks to check for exit */
s_mov_b64 s[42:43], 0x0                            // empty mask
s_or_b64 s[42:43], s[46:47], s[42:43]              // or to add threads
s_or_saveexec_b64 s[44:45], s[42:43]               // apply combined mask
s_cbranch_execnz label_0203                        // try again if not complete
label_0204:
s_mov_b64 exec, -1                                 // full mask -> exec
s_nop 0                                            // 1 wait state required when next inst writes vgprs held by previous dwordx4 store inst
/* optSingleColVgpr=0 optSharedColVgpr=0 optSGPRUsage=None optSrdIncForRow=0 */

/******************************************/
/* Global Write Alpha Edge Batch #17 (d1,d0,vc1,vc0) = */
/*    (4,0,0,1:vw1:vaw:1)                 */
/******************************************/

/* calc coords, apply mask, and issue loads (if necessary) */
/* (d1,vc1,d0,vc0)=(4,0,0,1) */
_v_add_co_u32 v4, vcc, v0, 1                       // coord0.1: coord0 += d0*sg0*VW + vc0
v_cmp_lt_u32 s[42:43], v4, s[sgprSizeI]            // coord0 < size0
v_cmp_lt_u32 s[46:47], v1, s[sgprSizeJ]            // coord1 < size1
s_and_b64 s[46:47], s[42:43], s[46:47]             // in0 && in1
_v_add_lshl_u32 v6, v3, v4, 0x3                    // scaleToBpe: accumulate d0 lower and *= bpe into Cin addr
v_cndmask_b32 v6, -1, v6, s[46:47]                 // LDD clip if OOB. offset
_buffer_load_b64 v[10:11], v6, s[sgprSrdD:sgprSrdD+3], 0, offen offset:0 // load D (atomic) bpm=8 vaw=1
v_accvgpr_read_b32 v[vgprValuC+12], acc40 // copy acc to vreg[34]
v_accvgpr_read_b32 v[vgprValuC+13], acc41 // copy acc to vreg[35]
s_nop 1                                            // 2 wait states required before reading vgpr

/* rC *= alpha batchElements=[(4, 0, 0, 1)] */
v_mul_f64 v[vgprValuC+12:vgprValuC+12+1], s[sgprAlpha:sgprAlpha+1], v[vgprValuC+12:vgprValuC+12+1] // *= alpha
s_waitcnt vmcnt(0)                                 // wait C (atomic)

/* issue first atomic writes */
s_mov_b64 exec, s[46:47]                           // sgprs -> exec (before atomic)
v_add_f64 v[8:9], v[10:11], v[vgprValuC+12:vgprValuC+12+1] // desired value
_buffer_atomic_cmpswap_b64 v[8:11], v6, s[sgprSrdD:sgprSrdD+3] 0 offen offset:0 glc   // attempt write
s_waitcnt vmcnt(0)                                 // wait for atomic writes

/* check success of writes, update masks */
s_mov_b64 exec, s[46:47]                           // sgprs -> exec
v_cmp_ne_u64 s[42:43], v[8:9], v[10:11]            // c read during atomic != c read during prior load
s_and_b64 s[46:47], s[42:43], s[46:47]             // inBounds & must try again

/* or masks to check for exit */
s_mov_b64 s[42:43], 0x0                            // empty mask
s_or_b64 s[42:43], s[46:47], s[42:43]              // or to add threads
s_or_saveexec_b64 s[44:45], s[42:43]               // apply combined mask
s_cbranch_execz label_0206                         // if exec is zero skip loop

/* atomic CAS loop */
label_0205:

/* apply updated masks and issue writes again */
s_mov_b64 exec, s[46:47]                           // must try again
v_mov_b32 v10, v8                                  // dataV+2 = tmp (new original C)
v_mov_b32 v11, v9                                  // dataV+3 = tmp (new original C)
v_add_f64 v[8:9], v[10:11], v[vgprValuC+12:vgprValuC+12+1] // newC = rC + originalC
_buffer_atomic_cmpswap_b64 v[8:11], v6, s[sgprSrdD:sgprSrdD+3] 0 offen offset:0 glc   // attempt write
s_waitcnt vmcnt(0)                                 // wait for atomic writes

/* apply masks and check for success */
s_mov_b64 exec, s[46:47]                           // must try again
v_cmp_ne_u64 s[42:43], v[8:9], v[10:11]            // c read during atomic != c read during prior load
s_and_b64 s[46:47], s[42:43], s[46:47]             // inBounds & must try again

/* or masks to check for exit */
s_mov_b64 s[42:43], 0x0                            // empty mask
s_or_b64 s[42:43], s[46:47], s[42:43]              // or to add threads
s_or_saveexec_b64 s[44:45], s[42:43]               // apply combined mask
s_cbranch_execnz label_0205                        // try again if not complete
label_0206:
s_mov_b64 exec, -1                                 // full mask -> exec
s_nop 0                                            // 1 wait state required when next inst writes vgprs held by previous dwordx4 store inst
/* optSingleColVgpr=0 optSharedColVgpr=0 optSGPRUsage=None optSrdIncForRow=0 */

/******************************************/
/* Global Write Alpha Edge Batch #18 (d1,d0,vc1,vc0) = */
/*    (4,1,0,0:vw1:vaw:1)                 */
/******************************************/

/* calc coords, apply mask, and issue loads (if necessary) */
/* (d1,vc1,d0,vc0)=(4,0,1,0) */
_v_add_co_u32 v4, vcc, v0, 64                      // coord0.1: coord0 += d0*sg0*VW + vc0
v_cmp_lt_u32 s[42:43], v4, s[sgprSizeI]            // coord0 < size0
v_cmp_lt_u32 s[46:47], v1, s[sgprSizeJ]            // coord1 < size1
s_and_b64 s[46:47], s[42:43], s[46:47]             // in0 && in1
_v_add_lshl_u32 v6, v3, v4, 0x3                    // scaleToBpe: accumulate d0 lower and *= bpe into Cin addr
v_cndmask_b32 v6, -1, v6, s[46:47]                 // LDD clip if OOB. offset
_buffer_load_b64 v[10:11], v6, s[sgprSrdD:sgprSrdD+3], 0, offen offset:0 // load D (atomic) bpm=8 vaw=1
v_accvgpr_read_b32 v[vgprValuC+12], acc48 // copy acc to vreg[36]
v_accvgpr_read_b32 v[vgprValuC+13], acc49 // copy acc to vreg[37]
s_nop 1                                            // 2 wait states required before reading vgpr

/* rC *= alpha batchElements=[(4, 1, 0, 0)] */
v_mul_f64 v[vgprValuC+12:vgprValuC+12+1], s[sgprAlpha:sgprAlpha+1], v[vgprValuC+12:vgprValuC+12+1] // *= alpha
s_waitcnt vmcnt(0)                                 // wait C (atomic)

/* issue first atomic writes */
s_mov_b64 exec, s[46:47]                           // sgprs -> exec (before atomic)
v_add_f64 v[8:9], v[10:11], v[vgprValuC+12:vgprValuC+12+1] // desired value
_buffer_atomic_cmpswap_b64 v[8:11], v6, s[sgprSrdD:sgprSrdD+3] 0 offen offset:0 glc   // attempt write
s_waitcnt vmcnt(0)                                 // wait for atomic writes

/* check success of writes, update masks */
s_mov_b64 exec, s[46:47]                           // sgprs -> exec
v_cmp_ne_u64 s[42:43], v[8:9], v[10:11]            // c read during atomic != c read during prior load
s_and_b64 s[46:47], s[42:43], s[46:47]             // inBounds & must try again

/* or masks to check for exit */
s_mov_b64 s[42:43], 0x0                            // empty mask
s_or_b64 s[42:43], s[46:47], s[42:43]              // or to add threads
s_or_saveexec_b64 s[44:45], s[42:43]               // apply combined mask
s_cbranch_execz label_0208                         // if exec is zero skip loop

/* atomic CAS loop */
label_0207:

/* apply updated masks and issue writes again */
s_mov_b64 exec, s[46:47]                           // must try again
v_mov_b32 v10, v8                                  // dataV+2 = tmp (new original C)
v_mov_b32 v11, v9                                  // dataV+3 = tmp (new original C)
v_add_f64 v[8:9], v[10:11], v[vgprValuC+12:vgprValuC+12+1] // newC = rC + originalC
_buffer_atomic_cmpswap_b64 v[8:11], v6, s[sgprSrdD:sgprSrdD+3] 0 offen offset:0 glc   // attempt write
s_waitcnt vmcnt(0)                                 // wait for atomic writes

/* apply masks and check for success */
s_mov_b64 exec, s[46:47]                           // must try again
v_cmp_ne_u64 s[42:43], v[8:9], v[10:11]            // c read during atomic != c read during prior load
s_and_b64 s[46:47], s[42:43], s[46:47]             // inBounds & must try again

/* or masks to check for exit */
s_mov_b64 s[42:43], 0x0                            // empty mask
s_or_b64 s[42:43], s[46:47], s[42:43]              // or to add threads
s_or_saveexec_b64 s[44:45], s[42:43]               // apply combined mask
s_cbranch_execnz label_0207                        // try again if not complete
label_0208:
s_mov_b64 exec, -1                                 // full mask -> exec
s_nop 0                                            // 1 wait state required when next inst writes vgprs held by previous dwordx4 store inst
/* optSingleColVgpr=0 optSharedColVgpr=0 optSGPRUsage=None optSrdIncForRow=0 */

/******************************************/
/* Global Write Alpha Edge Batch #19 (d1,d0,vc1,vc0) = */
/*    (4,1,0,1:vw1:vaw:1)                 */
/******************************************/

/* calc coords, apply mask, and issue loads (if necessary) */
/* (d1,vc1,d0,vc0)=(4,0,1,1) */
s_mov_b32 s42, 65                                  // coordOffset0 d0=1 vc0=1
_v_add_co_u32 v4, vcc, v0, s42                     // coord0.2: coord0 += d0*sg0*VW + vc0
v_cmp_lt_u32 s[42:43], v4, s[sgprSizeI]            // coord0 < size0
v_cmp_lt_u32 s[46:47], v1, s[sgprSizeJ]            // coord1 < size1
s_and_b64 s[46:47], s[42:43], s[46:47]             // in0 && in1
_v_add_lshl_u32 v6, v3, v4, 0x3                    // scaleToBpe: accumulate d0 lower and *= bpe into Cin addr
v_cndmask_b32 v6, -1, v6, s[46:47]                 // LDD clip if OOB. offset
_buffer_load_b64 v[10:11], v6, s[sgprSrdD:sgprSrdD+3], 0, offen offset:0 // load D (atomic) bpm=8 vaw=1
v_accvgpr_read_b32 v[vgprValuC+12], acc56 // copy acc to vreg[38]
v_accvgpr_read_b32 v[vgprValuC+13], acc57 // copy acc to vreg[39]
s_nop 1                                            // 2 wait states required before reading vgpr

/* rC *= alpha batchElements=[(4, 1, 0, 1)] */
v_mul_f64 v[vgprValuC+12:vgprValuC+12+1], s[sgprAlpha:sgprAlpha+1], v[vgprValuC+12:vgprValuC+12+1] // *= alpha
s_waitcnt vmcnt(0)                                 // wait C (atomic)

/* issue first atomic writes */
s_mov_b64 exec, s[46:47]                           // sgprs -> exec (before atomic)
v_add_f64 v[8:9], v[10:11], v[vgprValuC+12:vgprValuC+12+1] // desired value
_buffer_atomic_cmpswap_b64 v[8:11], v6, s[sgprSrdD:sgprSrdD+3] 0 offen offset:0 glc   // attempt write
s_waitcnt vmcnt(0)                                 // wait for atomic writes

/* check success of writes, update masks */
s_mov_b64 exec, s[46:47]                           // sgprs -> exec
v_cmp_ne_u64 s[42:43], v[8:9], v[10:11]            // c read during atomic != c read during prior load
s_and_b64 s[46:47], s[42:43], s[46:47]             // inBounds & must try again

/* or masks to check for exit */
s_mov_b64 s[42:43], 0x0                            // empty mask
s_or_b64 s[42:43], s[46:47], s[42:43]              // or to add threads
s_or_saveexec_b64 s[44:45], s[42:43]               // apply combined mask
s_cbranch_execz label_0210                         // if exec is zero skip loop

/* atomic CAS loop */
label_0209:

/* apply updated masks and issue writes again */
s_mov_b64 exec, s[46:47]                           // must try again
v_mov_b32 v10, v8                                  // dataV+2 = tmp (new original C)
v_mov_b32 v11, v9                                  // dataV+3 = tmp (new original C)
v_add_f64 v[8:9], v[10:11], v[vgprValuC+12:vgprValuC+12+1] // newC = rC + originalC
_buffer_atomic_cmpswap_b64 v[8:11], v6, s[sgprSrdD:sgprSrdD+3] 0 offen offset:0 glc   // attempt write
s_waitcnt vmcnt(0)                                 // wait for atomic writes

/* apply masks and check for success */
s_mov_b64 exec, s[46:47]                           // must try again
v_cmp_ne_u64 s[42:43], v[8:9], v[10:11]            // c read during atomic != c read during prior load
s_and_b64 s[46:47], s[42:43], s[46:47]             // inBounds & must try again

/* or masks to check for exit */
s_mov_b64 s[42:43], 0x0                            // empty mask
s_or_b64 s[42:43], s[46:47], s[42:43]              // or to add threads
s_or_saveexec_b64 s[44:45], s[42:43]               // apply combined mask
s_cbranch_execnz label_0209                        // try again if not complete
label_0210:
s_mov_b64 exec, -1                                 // full mask -> exec
s_nop 0                                            // 1 wait state required when next inst writes vgprs held by previous dwordx4 store inst
/* optSingleColVgpr=0 optSharedColVgpr=0 optSGPRUsage=None optSrdIncForRow=0 */

/******************************************/
/* Global Write Alpha Edge Batch #20 (d1,d0,vc1,vc0) = */
/*    (5,0,0,0:vw1:vaw:1)                 */
/******************************************/

/* calc coords, apply mask, and issue loads (if necessary) */
/* (d1,vc1,d0,vc0)=(5,0,0,0) */
_v_add_co_u32 v1, vcc, v1, 4                       // coord1.1: coord1Vgpr += d1*sg1*VW + vc1

/* Fix for UseInitialStridesCD, emitAddressSetupCode */
s_mul_i32 s42, s[sgprStrideC1J], 4                 // scale stride
_v_add_u32 v2, v2, s42                             // ROWINC- Move cinRowPtr to next row
s_mul_i32 s42, s[sgprStrideD1J], 4                 // scale stride
_v_add_u32 v3, v3, s42                             // Move coutRowPtr to next row
v_cmp_lt_u32 s[42:43], v0, s[sgprSizeI]            // coord0 < size0
v_cmp_lt_u32 s[46:47], v1, s[sgprSizeJ]            // coord1 < size1
s_and_b64 s[46:47], s[42:43], s[46:47]             // in0 && in1
_v_add_lshl_u32 v6, v3, v0, 0x3                    // scaleToBpe: accumulate d0 lower and *= bpe into Cin addr
v_cndmask_b32 v6, -1, v6, s[46:47]                 // LDD clip if OOB. offset
_buffer_load_b64 v[10:11], v6, s[sgprSrdD:sgprSrdD+3], 0, offen offset:0 // load D (atomic) bpm=8 vaw=1
v_accvgpr_read_b32 v[vgprValuC+12], acc34 // copy acc to vreg[40]
v_accvgpr_read_b32 v[vgprValuC+13], acc35 // copy acc to vreg[41]
s_nop 1                                            // 2 wait states required before reading vgpr

/* rC *= alpha batchElements=[(5, 0, 0, 0)] */
v_mul_f64 v[vgprValuC+12:vgprValuC+12+1], s[sgprAlpha:sgprAlpha+1], v[vgprValuC+12:vgprValuC+12+1] // *= alpha
s_waitcnt vmcnt(0)                                 // wait C (atomic)

/* issue first atomic writes */
s_mov_b64 exec, s[46:47]                           // sgprs -> exec (before atomic)
v_add_f64 v[8:9], v[10:11], v[vgprValuC+12:vgprValuC+12+1] // desired value
_buffer_atomic_cmpswap_b64 v[8:11], v6, s[sgprSrdD:sgprSrdD+3] 0 offen offset:0 glc   // attempt write
s_waitcnt vmcnt(0)                                 // wait for atomic writes

/* check success of writes, update masks */
s_mov_b64 exec, s[46:47]                           // sgprs -> exec
v_cmp_ne_u64 s[42:43], v[8:9], v[10:11]            // c read during atomic != c read during prior load
s_and_b64 s[46:47], s[42:43], s[46:47]             // inBounds & must try again

/* or masks to check for exit */
s_mov_b64 s[42:43], 0x0                            // empty mask
s_or_b64 s[42:43], s[46:47], s[42:43]              // or to add threads
s_or_saveexec_b64 s[44:45], s[42:43]               // apply combined mask
s_cbranch_execz label_0212                         // if exec is zero skip loop

/* atomic CAS loop */
label_0211:

/* apply updated masks and issue writes again */
s_mov_b64 exec, s[46:47]                           // must try again
v_mov_b32 v10, v8                                  // dataV+2 = tmp (new original C)
v_mov_b32 v11, v9                                  // dataV+3 = tmp (new original C)
v_add_f64 v[8:9], v[10:11], v[vgprValuC+12:vgprValuC+12+1] // newC = rC + originalC
_buffer_atomic_cmpswap_b64 v[8:11], v6, s[sgprSrdD:sgprSrdD+3] 0 offen offset:0 glc   // attempt write
s_waitcnt vmcnt(0)                                 // wait for atomic writes

/* apply masks and check for success */
s_mov_b64 exec, s[46:47]                           // must try again
v_cmp_ne_u64 s[42:43], v[8:9], v[10:11]            // c read during atomic != c read during prior load
s_and_b64 s[46:47], s[42:43], s[46:47]             // inBounds & must try again

/* or masks to check for exit */
s_mov_b64 s[42:43], 0x0                            // empty mask
s_or_b64 s[42:43], s[46:47], s[42:43]              // or to add threads
s_or_saveexec_b64 s[44:45], s[42:43]               // apply combined mask
s_cbranch_execnz label_0211                        // try again if not complete
label_0212:
s_mov_b64 exec, -1                                 // full mask -> exec
s_nop 0                                            // 1 wait state required when next inst writes vgprs held by previous dwordx4 store inst
/* optSingleColVgpr=0 optSharedColVgpr=0 optSGPRUsage=None optSrdIncForRow=0 */

/******************************************/
/* Global Write Alpha Edge Batch #21 (d1,d0,vc1,vc0) = */
/*    (5,0,0,1:vw1:vaw:1)                 */
/******************************************/

/* calc coords, apply mask, and issue loads (if necessary) */
/* (d1,vc1,d0,vc0)=(5,0,0,1) */
_v_add_co_u32 v4, vcc, v0, 1                       // coord0.1: coord0 += d0*sg0*VW + vc0
v_cmp_lt_u32 s[42:43], v4, s[sgprSizeI]            // coord0 < size0
v_cmp_lt_u32 s[46:47], v1, s[sgprSizeJ]            // coord1 < size1
s_and_b64 s[46:47], s[42:43], s[46:47]             // in0 && in1
_v_add_lshl_u32 v6, v3, v4, 0x3                    // scaleToBpe: accumulate d0 lower and *= bpe into Cin addr
v_cndmask_b32 v6, -1, v6, s[46:47]                 // LDD clip if OOB. offset
_buffer_load_b64 v[10:11], v6, s[sgprSrdD:sgprSrdD+3], 0, offen offset:0 // load D (atomic) bpm=8 vaw=1
v_accvgpr_read_b32 v[vgprValuC+12], acc42 // copy acc to vreg[42]
v_accvgpr_read_b32 v[vgprValuC+13], acc43 // copy acc to vreg[43]
s_nop 1                                            // 2 wait states required before reading vgpr

/* rC *= alpha batchElements=[(5, 0, 0, 1)] */
v_mul_f64 v[vgprValuC+12:vgprValuC+12+1], s[sgprAlpha:sgprAlpha+1], v[vgprValuC+12:vgprValuC+12+1] // *= alpha
s_waitcnt vmcnt(0)                                 // wait C (atomic)

/* issue first atomic writes */
s_mov_b64 exec, s[46:47]                           // sgprs -> exec (before atomic)
v_add_f64 v[8:9], v[10:11], v[vgprValuC+12:vgprValuC+12+1] // desired value
_buffer_atomic_cmpswap_b64 v[8:11], v6, s[sgprSrdD:sgprSrdD+3] 0 offen offset:0 glc   // attempt write
s_waitcnt vmcnt(0)                                 // wait for atomic writes

/* check success of writes, update masks */
s_mov_b64 exec, s[46:47]                           // sgprs -> exec
v_cmp_ne_u64 s[42:43], v[8:9], v[10:11]            // c read during atomic != c read during prior load
s_and_b64 s[46:47], s[42:43], s[46:47]             // inBounds & must try again

/* or masks to check for exit */
s_mov_b64 s[42:43], 0x0                            // empty mask
s_or_b64 s[42:43], s[46:47], s[42:43]              // or to add threads
s_or_saveexec_b64 s[44:45], s[42:43]               // apply combined mask
s_cbranch_execz label_0214                         // if exec is zero skip loop

/* atomic CAS loop */
label_0213:

/* apply updated masks and issue writes again */
s_mov_b64 exec, s[46:47]                           // must try again
v_mov_b32 v10, v8                                  // dataV+2 = tmp (new original C)
v_mov_b32 v11, v9                                  // dataV+3 = tmp (new original C)
v_add_f64 v[8:9], v[10:11], v[vgprValuC+12:vgprValuC+12+1] // newC = rC + originalC
_buffer_atomic_cmpswap_b64 v[8:11], v6, s[sgprSrdD:sgprSrdD+3] 0 offen offset:0 glc   // attempt write
s_waitcnt vmcnt(0)                                 // wait for atomic writes

/* apply masks and check for success */
s_mov_b64 exec, s[46:47]                           // must try again
v_cmp_ne_u64 s[42:43], v[8:9], v[10:11]            // c read during atomic != c read during prior load
s_and_b64 s[46:47], s[42:43], s[46:47]             // inBounds & must try again

/* or masks to check for exit */
s_mov_b64 s[42:43], 0x0                            // empty mask
s_or_b64 s[42:43], s[46:47], s[42:43]              // or to add threads
s_or_saveexec_b64 s[44:45], s[42:43]               // apply combined mask
s_cbranch_execnz label_0213                        // try again if not complete
label_0214:
s_mov_b64 exec, -1                                 // full mask -> exec
s_nop 0                                            // 1 wait state required when next inst writes vgprs held by previous dwordx4 store inst
/* optSingleColVgpr=0 optSharedColVgpr=0 optSGPRUsage=None optSrdIncForRow=0 */

/******************************************/
/* Global Write Alpha Edge Batch #22 (d1,d0,vc1,vc0) = */
/*    (5,1,0,0:vw1:vaw:1)                 */
/******************************************/

/* calc coords, apply mask, and issue loads (if necessary) */
/* (d1,vc1,d0,vc0)=(5,0,1,0) */
_v_add_co_u32 v4, vcc, v0, 64                      // coord0.1: coord0 += d0*sg0*VW + vc0
v_cmp_lt_u32 s[42:43], v4, s[sgprSizeI]            // coord0 < size0
v_cmp_lt_u32 s[46:47], v1, s[sgprSizeJ]            // coord1 < size1
s_and_b64 s[46:47], s[42:43], s[46:47]             // in0 && in1
_v_add_lshl_u32 v6, v3, v4, 0x3                    // scaleToBpe: accumulate d0 lower and *= bpe into Cin addr
v_cndmask_b32 v6, -1, v6, s[46:47]                 // LDD clip if OOB. offset
_buffer_load_b64 v[10:11], v6, s[sgprSrdD:sgprSrdD+3], 0, offen offset:0 // load D (atomic) bpm=8 vaw=1
v_accvgpr_read_b32 v[vgprValuC+12], acc50 // copy acc to vreg[44]
v_accvgpr_read_b32 v[vgprValuC+13], acc51 // copy acc to vreg[45]
s_nop 1                                            // 2 wait states required before reading vgpr

/* rC *= alpha batchElements=[(5, 1, 0, 0)] */
v_mul_f64 v[vgprValuC+12:vgprValuC+12+1], s[sgprAlpha:sgprAlpha+1], v[vgprValuC+12:vgprValuC+12+1] // *= alpha
s_waitcnt vmcnt(0)                                 // wait C (atomic)

/* issue first atomic writes */
s_mov_b64 exec, s[46:47]                           // sgprs -> exec (before atomic)
v_add_f64 v[8:9], v[10:11], v[vgprValuC+12:vgprValuC+12+1] // desired value
_buffer_atomic_cmpswap_b64 v[8:11], v6, s[sgprSrdD:sgprSrdD+3] 0 offen offset:0 glc   // attempt write
s_waitcnt vmcnt(0)                                 // wait for atomic writes

/* check success of writes, update masks */
s_mov_b64 exec, s[46:47]                           // sgprs -> exec
v_cmp_ne_u64 s[42:43], v[8:9], v[10:11]            // c read during atomic != c read during prior load
s_and_b64 s[46:47], s[42:43], s[46:47]             // inBounds & must try again

/* or masks to check for exit */
s_mov_b64 s[42:43], 0x0                            // empty mask
s_or_b64 s[42:43], s[46:47], s[42:43]              // or to add threads
s_or_saveexec_b64 s[44:45], s[42:43]               // apply combined mask
s_cbranch_execz label_0216                         // if exec is zero skip loop

/* atomic CAS loop */
label_0215:

/* apply updated masks and issue writes again */
s_mov_b64 exec, s[46:47]                           // must try again
v_mov_b32 v10, v8                                  // dataV+2 = tmp (new original C)
v_mov_b32 v11, v9                                  // dataV+3 = tmp (new original C)
v_add_f64 v[8:9], v[10:11], v[vgprValuC+12:vgprValuC+12+1] // newC = rC + originalC
_buffer_atomic_cmpswap_b64 v[8:11], v6, s[sgprSrdD:sgprSrdD+3] 0 offen offset:0 glc   // attempt write
s_waitcnt vmcnt(0)                                 // wait for atomic writes

/* apply masks and check for success */
s_mov_b64 exec, s[46:47]                           // must try again
v_cmp_ne_u64 s[42:43], v[8:9], v[10:11]            // c read during atomic != c read during prior load
s_and_b64 s[46:47], s[42:43], s[46:47]             // inBounds & must try again

/* or masks to check for exit */
s_mov_b64 s[42:43], 0x0                            // empty mask
s_or_b64 s[42:43], s[46:47], s[42:43]              // or to add threads
s_or_saveexec_b64 s[44:45], s[42:43]               // apply combined mask
s_cbranch_execnz label_0215                        // try again if not complete
label_0216:
s_mov_b64 exec, -1                                 // full mask -> exec
s_nop 0                                            // 1 wait state required when next inst writes vgprs held by previous dwordx4 store inst
/* optSingleColVgpr=0 optSharedColVgpr=0 optSGPRUsage=None optSrdIncForRow=0 */

/******************************************/
/* Global Write Alpha Edge Batch #23 (d1,d0,vc1,vc0) = */
/*    (5,1,0,1:vw1:vaw:1)                 */
/******************************************/

/* calc coords, apply mask, and issue loads (if necessary) */
/* (d1,vc1,d0,vc0)=(5,0,1,1) */
s_mov_b32 s42, 65                                  // coordOffset0 d0=1 vc0=1
_v_add_co_u32 v4, vcc, v0, s42                     // coord0.2: coord0 += d0*sg0*VW + vc0
v_cmp_lt_u32 s[42:43], v4, s[sgprSizeI]            // coord0 < size0
v_cmp_lt_u32 s[46:47], v1, s[sgprSizeJ]            // coord1 < size1
s_and_b64 s[46:47], s[42:43], s[46:47]             // in0 && in1
_v_add_lshl_u32 v6, v3, v4, 0x3                    // scaleToBpe: accumulate d0 lower and *= bpe into Cin addr
v_cndmask_b32 v6, -1, v6, s[46:47]                 // LDD clip if OOB. offset
_buffer_load_b64 v[10:11], v6, s[sgprSrdD:sgprSrdD+3], 0, offen offset:0 // load D (atomic) bpm=8 vaw=1
v_accvgpr_read_b32 v[vgprValuC+12], acc58 // copy acc to vreg[46]
v_accvgpr_read_b32 v[vgprValuC+13], acc59 // copy acc to vreg[47]
s_nop 1                                            // 2 wait states required before reading vgpr

/* rC *= alpha batchElements=[(5, 1, 0, 1)] */
v_mul_f64 v[vgprValuC+12:vgprValuC+12+1], s[sgprAlpha:sgprAlpha+1], v[vgprValuC+12:vgprValuC+12+1] // *= alpha
s_waitcnt vmcnt(0)                                 // wait C (atomic)

/* issue first atomic writes */
s_mov_b64 exec, s[46:47]                           // sgprs -> exec (before atomic)
v_add_f64 v[8:9], v[10:11], v[vgprValuC+12:vgprValuC+12+1] // desired value
_buffer_atomic_cmpswap_b64 v[8:11], v6, s[sgprSrdD:sgprSrdD+3] 0 offen offset:0 glc   // attempt write
s_waitcnt vmcnt(0)                                 // wait for atomic writes

/* check success of writes, update masks */
s_mov_b64 exec, s[46:47]                           // sgprs -> exec
v_cmp_ne_u64 s[42:43], v[8:9], v[10:11]            // c read during atomic != c read during prior load
s_and_b64 s[46:47], s[42:43], s[46:47]             // inBounds & must try again

/* or masks to check for exit */
s_mov_b64 s[42:43], 0x0                            // empty mask
s_or_b64 s[42:43], s[46:47], s[42:43]              // or to add threads
s_or_saveexec_b64 s[44:45], s[42:43]               // apply combined mask
s_cbranch_execz label_0218                         // if exec is zero skip loop

/* atomic CAS loop */
label_0217:

/* apply updated masks and issue writes again */
s_mov_b64 exec, s[46:47]                           // must try again
v_mov_b32 v10, v8                                  // dataV+2 = tmp (new original C)
v_mov_b32 v11, v9                                  // dataV+3 = tmp (new original C)
v_add_f64 v[8:9], v[10:11], v[vgprValuC+12:vgprValuC+12+1] // newC = rC + originalC
_buffer_atomic_cmpswap_b64 v[8:11], v6, s[sgprSrdD:sgprSrdD+3] 0 offen offset:0 glc   // attempt write
s_waitcnt vmcnt(0)                                 // wait for atomic writes

/* apply masks and check for success */
s_mov_b64 exec, s[46:47]                           // must try again
v_cmp_ne_u64 s[42:43], v[8:9], v[10:11]            // c read during atomic != c read during prior load
s_and_b64 s[46:47], s[42:43], s[46:47]             // inBounds & must try again

/* or masks to check for exit */
s_mov_b64 s[42:43], 0x0                            // empty mask
s_or_b64 s[42:43], s[46:47], s[42:43]              // or to add threads
s_or_saveexec_b64 s[44:45], s[42:43]               // apply combined mask
s_cbranch_execnz label_0217                        // try again if not complete
label_0218:
s_mov_b64 exec, -1                                 // full mask -> exec
s_nop 0                                            // 1 wait state required when next inst writes vgprs held by previous dwordx4 store inst
/* optSingleColVgpr=0 optSharedColVgpr=0 optSGPRUsage=None optSrdIncForRow=0 */

/******************************************/
/* Global Write Alpha Edge Batch #24 (d1,d0,vc1,vc0) = */
/*    (6,0,0,0:vw1:vaw:1)                 */
/******************************************/

/* calc coords, apply mask, and issue loads (if necessary) */
/* (d1,vc1,d0,vc0)=(6,0,0,0) */
_v_add_co_u32 v1, vcc, v1, 4                       // coord1.1: coord1Vgpr += d1*sg1*VW + vc1

/* Fix for UseInitialStridesCD, emitAddressSetupCode */
s_mul_i32 s42, s[sgprStrideC1J], 4                 // scale stride
_v_add_u32 v2, v2, s42                             // ROWINC- Move cinRowPtr to next row
s_mul_i32 s42, s[sgprStrideD1J], 4                 // scale stride
_v_add_u32 v3, v3, s42                             // Move coutRowPtr to next row
v_cmp_lt_u32 s[42:43], v0, s[sgprSizeI]            // coord0 < size0
v_cmp_lt_u32 s[46:47], v1, s[sgprSizeJ]            // coord1 < size1
s_and_b64 s[46:47], s[42:43], s[46:47]             // in0 && in1
_v_add_lshl_u32 v6, v3, v0, 0x3                    // scaleToBpe: accumulate d0 lower and *= bpe into Cin addr
v_cndmask_b32 v6, -1, v6, s[46:47]                 // LDD clip if OOB. offset
_buffer_load_b64 v[10:11], v6, s[sgprSrdD:sgprSrdD+3], 0, offen offset:0 // load D (atomic) bpm=8 vaw=1
v_accvgpr_read_b32 v[vgprValuC+12], acc36 // copy acc to vreg[48]
v_accvgpr_read_b32 v[vgprValuC+13], acc37 // copy acc to vreg[49]
s_nop 1                                            // 2 wait states required before reading vgpr

/* rC *= alpha batchElements=[(6, 0, 0, 0)] */
v_mul_f64 v[vgprValuC+12:vgprValuC+12+1], s[sgprAlpha:sgprAlpha+1], v[vgprValuC+12:vgprValuC+12+1] // *= alpha
s_waitcnt vmcnt(0)                                 // wait C (atomic)

/* issue first atomic writes */
s_mov_b64 exec, s[46:47]                           // sgprs -> exec (before atomic)
v_add_f64 v[8:9], v[10:11], v[vgprValuC+12:vgprValuC+12+1] // desired value
_buffer_atomic_cmpswap_b64 v[8:11], v6, s[sgprSrdD:sgprSrdD+3] 0 offen offset:0 glc   // attempt write
s_waitcnt vmcnt(0)                                 // wait for atomic writes

/* check success of writes, update masks */
s_mov_b64 exec, s[46:47]                           // sgprs -> exec
v_cmp_ne_u64 s[42:43], v[8:9], v[10:11]            // c read during atomic != c read during prior load
s_and_b64 s[46:47], s[42:43], s[46:47]             // inBounds & must try again

/* or masks to check for exit */
s_mov_b64 s[42:43], 0x0                            // empty mask
s_or_b64 s[42:43], s[46:47], s[42:43]              // or to add threads
s_or_saveexec_b64 s[44:45], s[42:43]               // apply combined mask
s_cbranch_execz label_0220                         // if exec is zero skip loop

/* atomic CAS loop */
label_0219:

/* apply updated masks and issue writes again */
s_mov_b64 exec, s[46:47]                           // must try again
v_mov_b32 v10, v8                                  // dataV+2 = tmp (new original C)
v_mov_b32 v11, v9                                  // dataV+3 = tmp (new original C)
v_add_f64 v[8:9], v[10:11], v[vgprValuC+12:vgprValuC+12+1] // newC = rC + originalC
_buffer_atomic_cmpswap_b64 v[8:11], v6, s[sgprSrdD:sgprSrdD+3] 0 offen offset:0 glc   // attempt write
s_waitcnt vmcnt(0)                                 // wait for atomic writes

/* apply masks and check for success */
s_mov_b64 exec, s[46:47]                           // must try again
v_cmp_ne_u64 s[42:43], v[8:9], v[10:11]            // c read during atomic != c read during prior load
s_and_b64 s[46:47], s[42:43], s[46:47]             // inBounds & must try again

/* or masks to check for exit */
s_mov_b64 s[42:43], 0x0                            // empty mask
s_or_b64 s[42:43], s[46:47], s[42:43]              // or to add threads
s_or_saveexec_b64 s[44:45], s[42:43]               // apply combined mask
s_cbranch_execnz label_0219                        // try again if not complete
label_0220:
s_mov_b64 exec, -1                                 // full mask -> exec
s_nop 0                                            // 1 wait state required when next inst writes vgprs held by previous dwordx4 store inst
/* optSingleColVgpr=0 optSharedColVgpr=0 optSGPRUsage=None optSrdIncForRow=0 */

/******************************************/
/* Global Write Alpha Edge Batch #25 (d1,d0,vc1,vc0) = */
/*    (6,0,0,1:vw1:vaw:1)                 */
/******************************************/

/* calc coords, apply mask, and issue loads (if necessary) */
/* (d1,vc1,d0,vc0)=(6,0,0,1) */
_v_add_co_u32 v4, vcc, v0, 1                       // coord0.1: coord0 += d0*sg0*VW + vc0
v_cmp_lt_u32 s[42:43], v4, s[sgprSizeI]            // coord0 < size0
v_cmp_lt_u32 s[46:47], v1, s[sgprSizeJ]            // coord1 < size1
s_and_b64 s[46:47], s[42:43], s[46:47]             // in0 && in1
_v_add_lshl_u32 v6, v3, v4, 0x3                    // scaleToBpe: accumulate d0 lower and *= bpe into Cin addr
v_cndmask_b32 v6, -1, v6, s[46:47]                 // LDD clip if OOB. offset
_buffer_load_b64 v[10:11], v6, s[sgprSrdD:sgprSrdD+3], 0, offen offset:0 // load D (atomic) bpm=8 vaw=1
v_accvgpr_read_b32 v[vgprValuC+12], acc44 // copy acc to vreg[50]
v_accvgpr_read_b32 v[vgprValuC+13], acc45 // copy acc to vreg[51]
s_nop 1                                            // 2 wait states required before reading vgpr

/* rC *= alpha batchElements=[(6, 0, 0, 1)] */
v_mul_f64 v[vgprValuC+12:vgprValuC+12+1], s[sgprAlpha:sgprAlpha+1], v[vgprValuC+12:vgprValuC+12+1] // *= alpha
s_waitcnt vmcnt(0)                                 // wait C (atomic)

/* issue first atomic writes */
s_mov_b64 exec, s[46:47]                           // sgprs -> exec (before atomic)
v_add_f64 v[8:9], v[10:11], v[vgprValuC+12:vgprValuC+12+1] // desired value
_buffer_atomic_cmpswap_b64 v[8:11], v6, s[sgprSrdD:sgprSrdD+3] 0 offen offset:0 glc   // attempt write
s_waitcnt vmcnt(0)                                 // wait for atomic writes

/* check success of writes, update masks */
s_mov_b64 exec, s[46:47]                           // sgprs -> exec
v_cmp_ne_u64 s[42:43], v[8:9], v[10:11]            // c read during atomic != c read during prior load
s_and_b64 s[46:47], s[42:43], s[46:47]             // inBounds & must try again

/* or masks to check for exit */
s_mov_b64 s[42:43], 0x0                            // empty mask
s_or_b64 s[42:43], s[46:47], s[42:43]              // or to add threads
s_or_saveexec_b64 s[44:45], s[42:43]               // apply combined mask
s_cbranch_execz label_0222                         // if exec is zero skip loop

/* atomic CAS loop */
label_0221:

/* apply updated masks and issue writes again */
s_mov_b64 exec, s[46:47]                           // must try again
v_mov_b32 v10, v8                                  // dataV+2 = tmp (new original C)
v_mov_b32 v11, v9                                  // dataV+3 = tmp (new original C)
v_add_f64 v[8:9], v[10:11], v[vgprValuC+12:vgprValuC+12+1] // newC = rC + originalC
_buffer_atomic_cmpswap_b64 v[8:11], v6, s[sgprSrdD:sgprSrdD+3] 0 offen offset:0 glc   // attempt write
s_waitcnt vmcnt(0)                                 // wait for atomic writes

/* apply masks and check for success */
s_mov_b64 exec, s[46:47]                           // must try again
v_cmp_ne_u64 s[42:43], v[8:9], v[10:11]            // c read during atomic != c read during prior load
s_and_b64 s[46:47], s[42:43], s[46:47]             // inBounds & must try again

/* or masks to check for exit */
s_mov_b64 s[42:43], 0x0                            // empty mask
s_or_b64 s[42:43], s[46:47], s[42:43]              // or to add threads
s_or_saveexec_b64 s[44:45], s[42:43]               // apply combined mask
s_cbranch_execnz label_0221                        // try again if not complete
label_0222:
s_mov_b64 exec, -1                                 // full mask -> exec
s_nop 0                                            // 1 wait state required when next inst writes vgprs held by previous dwordx4 store inst
/* optSingleColVgpr=0 optSharedColVgpr=0 optSGPRUsage=None optSrdIncForRow=0 */

/******************************************/
/* Global Write Alpha Edge Batch #26 (d1,d0,vc1,vc0) = */
/*    (6,1,0,0:vw1:vaw:1)                 */
/******************************************/

/* calc coords, apply mask, and issue loads (if necessary) */
/* (d1,vc1,d0,vc0)=(6,0,1,0) */
_v_add_co_u32 v4, vcc, v0, 64                      // coord0.1: coord0 += d0*sg0*VW + vc0
v_cmp_lt_u32 s[42:43], v4, s[sgprSizeI]            // coord0 < size0
v_cmp_lt_u32 s[46:47], v1, s[sgprSizeJ]            // coord1 < size1
s_and_b64 s[46:47], s[42:43], s[46:47]             // in0 && in1
_v_add_lshl_u32 v6, v3, v4, 0x3                    // scaleToBpe: accumulate d0 lower and *= bpe into Cin addr
v_cndmask_b32 v6, -1, v6, s[46:47]                 // LDD clip if OOB. offset
_buffer_load_b64 v[10:11], v6, s[sgprSrdD:sgprSrdD+3], 0, offen offset:0 // load D (atomic) bpm=8 vaw=1
v_accvgpr_read_b32 v[vgprValuC+12], acc52 // copy acc to vreg[52]
v_accvgpr_read_b32 v[vgprValuC+13], acc53 // copy acc to vreg[53]
s_nop 1                                            // 2 wait states required before reading vgpr

/* rC *= alpha batchElements=[(6, 1, 0, 0)] */
v_mul_f64 v[vgprValuC+12:vgprValuC+12+1], s[sgprAlpha:sgprAlpha+1], v[vgprValuC+12:vgprValuC+12+1] // *= alpha
s_waitcnt vmcnt(0)                                 // wait C (atomic)

/* issue first atomic writes */
s_mov_b64 exec, s[46:47]                           // sgprs -> exec (before atomic)
v_add_f64 v[8:9], v[10:11], v[vgprValuC+12:vgprValuC+12+1] // desired value
_buffer_atomic_cmpswap_b64 v[8:11], v6, s[sgprSrdD:sgprSrdD+3] 0 offen offset:0 glc   // attempt write
s_waitcnt vmcnt(0)                                 // wait for atomic writes

/* check success of writes, update masks */
s_mov_b64 exec, s[46:47]                           // sgprs -> exec
v_cmp_ne_u64 s[42:43], v[8:9], v[10:11]            // c read during atomic != c read during prior load
s_and_b64 s[46:47], s[42:43], s[46:47]             // inBounds & must try again

/* or masks to check for exit */
s_mov_b64 s[42:43], 0x0                            // empty mask
s_or_b64 s[42:43], s[46:47], s[42:43]              // or to add threads
s_or_saveexec_b64 s[44:45], s[42:43]               // apply combined mask
s_cbranch_execz label_0224                         // if exec is zero skip loop

/* atomic CAS loop */
label_0223:

/* apply updated masks and issue writes again */
s_mov_b64 exec, s[46:47]                           // must try again
v_mov_b32 v10, v8                                  // dataV+2 = tmp (new original C)
v_mov_b32 v11, v9                                  // dataV+3 = tmp (new original C)
v_add_f64 v[8:9], v[10:11], v[vgprValuC+12:vgprValuC+12+1] // newC = rC + originalC
_buffer_atomic_cmpswap_b64 v[8:11], v6, s[sgprSrdD:sgprSrdD+3] 0 offen offset:0 glc   // attempt write
s_waitcnt vmcnt(0)                                 // wait for atomic writes

/* apply masks and check for success */
s_mov_b64 exec, s[46:47]                           // must try again
v_cmp_ne_u64 s[42:43], v[8:9], v[10:11]            // c read during atomic != c read during prior load
s_and_b64 s[46:47], s[42:43], s[46:47]             // inBounds & must try again

/* or masks to check for exit */
s_mov_b64 s[42:43], 0x0                            // empty mask
s_or_b64 s[42:43], s[46:47], s[42:43]              // or to add threads
s_or_saveexec_b64 s[44:45], s[42:43]               // apply combined mask
s_cbranch_execnz label_0223                        // try again if not complete
label_0224:
s_mov_b64 exec, -1                                 // full mask -> exec
s_nop 0                                            // 1 wait state required when next inst writes vgprs held by previous dwordx4 store inst
/* optSingleColVgpr=0 optSharedColVgpr=0 optSGPRUsage=None optSrdIncForRow=0 */

/******************************************/
/* Global Write Alpha Edge Batch #27 (d1,d0,vc1,vc0) = */
/*    (6,1,0,1:vw1:vaw:1)                 */
/******************************************/

/* calc coords, apply mask, and issue loads (if necessary) */
/* (d1,vc1,d0,vc0)=(6,0,1,1) */
s_mov_b32 s42, 65                                  // coordOffset0 d0=1 vc0=1
_v_add_co_u32 v4, vcc, v0, s42                     // coord0.2: coord0 += d0*sg0*VW + vc0
v_cmp_lt_u32 s[42:43], v4, s[sgprSizeI]            // coord0 < size0
v_cmp_lt_u32 s[46:47], v1, s[sgprSizeJ]            // coord1 < size1
s_and_b64 s[46:47], s[42:43], s[46:47]             // in0 && in1
_v_add_lshl_u32 v6, v3, v4, 0x3                    // scaleToBpe: accumulate d0 lower and *= bpe into Cin addr
v_cndmask_b32 v6, -1, v6, s[46:47]                 // LDD clip if OOB. offset
_buffer_load_b64 v[10:11], v6, s[sgprSrdD:sgprSrdD+3], 0, offen offset:0 // load D (atomic) bpm=8 vaw=1
v_accvgpr_read_b32 v[vgprValuC+12], acc60 // copy acc to vreg[54]
v_accvgpr_read_b32 v[vgprValuC+13], acc61 // copy acc to vreg[55]
s_nop 1                                            // 2 wait states required before reading vgpr

/* rC *= alpha batchElements=[(6, 1, 0, 1)] */
v_mul_f64 v[vgprValuC+12:vgprValuC+12+1], s[sgprAlpha:sgprAlpha+1], v[vgprValuC+12:vgprValuC+12+1] // *= alpha
s_waitcnt vmcnt(0)                                 // wait C (atomic)

/* issue first atomic writes */
s_mov_b64 exec, s[46:47]                           // sgprs -> exec (before atomic)
v_add_f64 v[8:9], v[10:11], v[vgprValuC+12:vgprValuC+12+1] // desired value
_buffer_atomic_cmpswap_b64 v[8:11], v6, s[sgprSrdD:sgprSrdD+3] 0 offen offset:0 glc   // attempt write
s_waitcnt vmcnt(0)                                 // wait for atomic writes

/* check success of writes, update masks */
s_mov_b64 exec, s[46:47]                           // sgprs -> exec
v_cmp_ne_u64 s[42:43], v[8:9], v[10:11]            // c read during atomic != c read during prior load
s_and_b64 s[46:47], s[42:43], s[46:47]             // inBounds & must try again

/* or masks to check for exit */
s_mov_b64 s[42:43], 0x0                            // empty mask
s_or_b64 s[42:43], s[46:47], s[42:43]              // or to add threads
s_or_saveexec_b64 s[44:45], s[42:43]               // apply combined mask
s_cbranch_execz label_0226                         // if exec is zero skip loop

/* atomic CAS loop */
label_0225:

/* apply updated masks and issue writes again */
s_mov_b64 exec, s[46:47]                           // must try again
v_mov_b32 v10, v8                                  // dataV+2 = tmp (new original C)
v_mov_b32 v11, v9                                  // dataV+3 = tmp (new original C)
v_add_f64 v[8:9], v[10:11], v[vgprValuC+12:vgprValuC+12+1] // newC = rC + originalC
_buffer_atomic_cmpswap_b64 v[8:11], v6, s[sgprSrdD:sgprSrdD+3] 0 offen offset:0 glc   // attempt write
s_waitcnt vmcnt(0)                                 // wait for atomic writes

/* apply masks and check for success */
s_mov_b64 exec, s[46:47]                           // must try again
v_cmp_ne_u64 s[42:43], v[8:9], v[10:11]            // c read during atomic != c read during prior load
s_and_b64 s[46:47], s[42:43], s[46:47]             // inBounds & must try again

/* or masks to check for exit */
s_mov_b64 s[42:43], 0x0                            // empty mask
s_or_b64 s[42:43], s[46:47], s[42:43]              // or to add threads
s_or_saveexec_b64 s[44:45], s[42:43]               // apply combined mask
s_cbranch_execnz label_0225                        // try again if not complete
label_0226:
s_mov_b64 exec, -1                                 // full mask -> exec
s_nop 0                                            // 1 wait state required when next inst writes vgprs held by previous dwordx4 store inst
/* optSingleColVgpr=0 optSharedColVgpr=0 optSGPRUsage=None optSrdIncForRow=0 */

/******************************************/
/* Global Write Alpha Edge Batch #28 (d1,d0,vc1,vc0) = */
/*    (7,0,0,0:vw1:vaw:1)                 */
/******************************************/

/* calc coords, apply mask, and issue loads (if necessary) */
/* (d1,vc1,d0,vc0)=(7,0,0,0) */
_v_add_co_u32 v1, vcc, v1, 4                       // coord1.1: coord1Vgpr += d1*sg1*VW + vc1

/* Fix for UseInitialStridesCD, emitAddressSetupCode */
s_mul_i32 s42, s[sgprStrideC1J], 4                 // scale stride
_v_add_u32 v2, v2, s42                             // ROWINC- Move cinRowPtr to next row
s_mul_i32 s42, s[sgprStrideD1J], 4                 // scale stride
_v_add_u32 v3, v3, s42                             // Move coutRowPtr to next row
v_cmp_lt_u32 s[42:43], v0, s[sgprSizeI]            // coord0 < size0
v_cmp_lt_u32 s[46:47], v1, s[sgprSizeJ]            // coord1 < size1
s_and_b64 s[46:47], s[42:43], s[46:47]             // in0 && in1
_v_add_lshl_u32 v6, v3, v0, 0x3                    // scaleToBpe: accumulate d0 lower and *= bpe into Cin addr
v_cndmask_b32 v6, -1, v6, s[46:47]                 // LDD clip if OOB. offset
_buffer_load_b64 v[10:11], v6, s[sgprSrdD:sgprSrdD+3], 0, offen offset:0 // load D (atomic) bpm=8 vaw=1
v_accvgpr_read_b32 v[vgprValuC+12], acc38 // copy acc to vreg[56]
v_accvgpr_read_b32 v[vgprValuC+13], acc39 // copy acc to vreg[57]
s_nop 1                                            // 2 wait states required before reading vgpr

/* rC *= alpha batchElements=[(7, 0, 0, 0)] */
v_mul_f64 v[vgprValuC+12:vgprValuC+12+1], s[sgprAlpha:sgprAlpha+1], v[vgprValuC+12:vgprValuC+12+1] // *= alpha
s_waitcnt vmcnt(0)                                 // wait C (atomic)

/* issue first atomic writes */
s_mov_b64 exec, s[46:47]                           // sgprs -> exec (before atomic)
v_add_f64 v[8:9], v[10:11], v[vgprValuC+12:vgprValuC+12+1] // desired value
_buffer_atomic_cmpswap_b64 v[8:11], v6, s[sgprSrdD:sgprSrdD+3] 0 offen offset:0 glc   // attempt write
s_waitcnt vmcnt(0)                                 // wait for atomic writes

/* check success of writes, update masks */
s_mov_b64 exec, s[46:47]                           // sgprs -> exec
v_cmp_ne_u64 s[42:43], v[8:9], v[10:11]            // c read during atomic != c read during prior load
s_and_b64 s[46:47], s[42:43], s[46:47]             // inBounds & must try again

/* or masks to check for exit */
s_mov_b64 s[42:43], 0x0                            // empty mask
s_or_b64 s[42:43], s[46:47], s[42:43]              // or to add threads
s_or_saveexec_b64 s[44:45], s[42:43]               // apply combined mask
s_cbranch_execz label_0228                         // if exec is zero skip loop

/* atomic CAS loop */
label_0227:

/* apply updated masks and issue writes again */
s_mov_b64 exec, s[46:47]                           // must try again
v_mov_b32 v10, v8                                  // dataV+2 = tmp (new original C)
v_mov_b32 v11, v9                                  // dataV+3 = tmp (new original C)
v_add_f64 v[8:9], v[10:11], v[vgprValuC+12:vgprValuC+12+1] // newC = rC + originalC
_buffer_atomic_cmpswap_b64 v[8:11], v6, s[sgprSrdD:sgprSrdD+3] 0 offen offset:0 glc   // attempt write
s_waitcnt vmcnt(0)                                 // wait for atomic writes

/* apply masks and check for success */
s_mov_b64 exec, s[46:47]                           // must try again
v_cmp_ne_u64 s[42:43], v[8:9], v[10:11]            // c read during atomic != c read during prior load
s_and_b64 s[46:47], s[42:43], s[46:47]             // inBounds & must try again

/* or masks to check for exit */
s_mov_b64 s[42:43], 0x0                            // empty mask
s_or_b64 s[42:43], s[46:47], s[42:43]              // or to add threads
s_or_saveexec_b64 s[44:45], s[42:43]               // apply combined mask
s_cbranch_execnz label_0227                        // try again if not complete
label_0228:
s_mov_b64 exec, -1                                 // full mask -> exec
s_nop 0                                            // 1 wait state required when next inst writes vgprs held by previous dwordx4 store inst
/* optSingleColVgpr=0 optSharedColVgpr=0 optSGPRUsage=None optSrdIncForRow=0 */

/******************************************/
/* Global Write Alpha Edge Batch #29 (d1,d0,vc1,vc0) = */
/*    (7,0,0,1:vw1:vaw:1)                 */
/******************************************/

/* calc coords, apply mask, and issue loads (if necessary) */
/* (d1,vc1,d0,vc0)=(7,0,0,1) */
_v_add_co_u32 v4, vcc, v0, 1                       // coord0.1: coord0 += d0*sg0*VW + vc0
v_cmp_lt_u32 s[42:43], v4, s[sgprSizeI]            // coord0 < size0
v_cmp_lt_u32 s[46:47], v1, s[sgprSizeJ]            // coord1 < size1
s_and_b64 s[46:47], s[42:43], s[46:47]             // in0 && in1
_v_add_lshl_u32 v6, v3, v4, 0x3                    // scaleToBpe: accumulate d0 lower and *= bpe into Cin addr
v_cndmask_b32 v6, -1, v6, s[46:47]                 // LDD clip if OOB. offset
_buffer_load_b64 v[10:11], v6, s[sgprSrdD:sgprSrdD+3], 0, offen offset:0 // load D (atomic) bpm=8 vaw=1
v_accvgpr_read_b32 v[vgprValuC+12], acc46 // copy acc to vreg[58]
v_accvgpr_read_b32 v[vgprValuC+13], acc47 // copy acc to vreg[59]
s_nop 1                                            // 2 wait states required before reading vgpr

/* rC *= alpha batchElements=[(7, 0, 0, 1)] */
v_mul_f64 v[vgprValuC+12:vgprValuC+12+1], s[sgprAlpha:sgprAlpha+1], v[vgprValuC+12:vgprValuC+12+1] // *= alpha
s_waitcnt vmcnt(0)                                 // wait C (atomic)

/* issue first atomic writes */
s_mov_b64 exec, s[46:47]                           // sgprs -> exec (before atomic)
v_add_f64 v[8:9], v[10:11], v[vgprValuC+12:vgprValuC+12+1] // desired value
_buffer_atomic_cmpswap_b64 v[8:11], v6, s[sgprSrdD:sgprSrdD+3] 0 offen offset:0 glc   // attempt write
s_waitcnt vmcnt(0)                                 // wait for atomic writes

/* check success of writes, update masks */
s_mov_b64 exec, s[46:47]                           // sgprs -> exec
v_cmp_ne_u64 s[42:43], v[8:9], v[10:11]            // c read during atomic != c read during prior load
s_and_b64 s[46:47], s[42:43], s[46:47]             // inBounds & must try again

/* or masks to check for exit */
s_mov_b64 s[42:43], 0x0                            // empty mask
s_or_b64 s[42:43], s[46:47], s[42:43]              // or to add threads
s_or_saveexec_b64 s[44:45], s[42:43]               // apply combined mask
s_cbranch_execz label_0230                         // if exec is zero skip loop

/* atomic CAS loop */
label_0229:

/* apply updated masks and issue writes again */
s_mov_b64 exec, s[46:47]                           // must try again
v_mov_b32 v10, v8                                  // dataV+2 = tmp (new original C)
v_mov_b32 v11, v9                                  // dataV+3 = tmp (new original C)
v_add_f64 v[8:9], v[10:11], v[vgprValuC+12:vgprValuC+12+1] // newC = rC + originalC
_buffer_atomic_cmpswap_b64 v[8:11], v6, s[sgprSrdD:sgprSrdD+3] 0 offen offset:0 glc   // attempt write
s_waitcnt vmcnt(0)                                 // wait for atomic writes

/* apply masks and check for success */
s_mov_b64 exec, s[46:47]                           // must try again
v_cmp_ne_u64 s[42:43], v[8:9], v[10:11]            // c read during atomic != c read during prior load
s_and_b64 s[46:47], s[42:43], s[46:47]             // inBounds & must try again

/* or masks to check for exit */
s_mov_b64 s[42:43], 0x0                            // empty mask
s_or_b64 s[42:43], s[46:47], s[42:43]              // or to add threads
s_or_saveexec_b64 s[44:45], s[42:43]               // apply combined mask
s_cbranch_execnz label_0229                        // try again if not complete
label_0230:
s_mov_b64 exec, -1                                 // full mask -> exec
s_nop 0                                            // 1 wait state required when next inst writes vgprs held by previous dwordx4 store inst
/* optSingleColVgpr=0 optSharedColVgpr=0 optSGPRUsage=None optSrdIncForRow=0 */

/******************************************/
/* Global Write Alpha Edge Batch #30 (d1,d0,vc1,vc0) = */
/*    (7,1,0,0:vw1:vaw:1)                 */
/******************************************/

/* calc coords, apply mask, and issue loads (if necessary) */
/* (d1,vc1,d0,vc0)=(7,0,1,0) */
_v_add_co_u32 v4, vcc, v0, 64                      // coord0.1: coord0 += d0*sg0*VW + vc0
v_cmp_lt_u32 s[42:43], v4, s[sgprSizeI]            // coord0 < size0
v_cmp_lt_u32 s[46:47], v1, s[sgprSizeJ]            // coord1 < size1
s_and_b64 s[46:47], s[42:43], s[46:47]             // in0 && in1
_v_add_lshl_u32 v6, v3, v4, 0x3                    // scaleToBpe: accumulate d0 lower and *= bpe into Cin addr
v_cndmask_b32 v6, -1, v6, s[46:47]                 // LDD clip if OOB. offset
_buffer_load_b64 v[10:11], v6, s[sgprSrdD:sgprSrdD+3], 0, offen offset:0 // load D (atomic) bpm=8 vaw=1
v_accvgpr_read_b32 v[vgprValuC+12], acc54 // copy acc to vreg[60]
v_accvgpr_read_b32 v[vgprValuC+13], acc55 // copy acc to vreg[61]
s_nop 1                                            // 2 wait states required before reading vgpr

/* rC *= alpha batchElements=[(7, 1, 0, 0)] */
v_mul_f64 v[vgprValuC+12:vgprValuC+12+1], s[sgprAlpha:sgprAlpha+1], v[vgprValuC+12:vgprValuC+12+1] // *= alpha
s_waitcnt vmcnt(0)                                 // wait C (atomic)

/* issue first atomic writes */
s_mov_b64 exec, s[46:47]                           // sgprs -> exec (before atomic)
v_add_f64 v[8:9], v[10:11], v[vgprValuC+12:vgprValuC+12+1] // desired value
_buffer_atomic_cmpswap_b64 v[8:11], v6, s[sgprSrdD:sgprSrdD+3] 0 offen offset:0 glc   // attempt write
s_waitcnt vmcnt(0)                                 // wait for atomic writes

/* check success of writes, update masks */
s_mov_b64 exec, s[46:47]                           // sgprs -> exec
v_cmp_ne_u64 s[42:43], v[8:9], v[10:11]            // c read during atomic != c read during prior load
s_and_b64 s[46:47], s[42:43], s[46:47]             // inBounds & must try again

/* or masks to check for exit */
s_mov_b64 s[42:43], 0x0                            // empty mask
s_or_b64 s[42:43], s[46:47], s[42:43]              // or to add threads
s_or_saveexec_b64 s[44:45], s[42:43]               // apply combined mask
s_cbranch_execz label_0232                         // if exec is zero skip loop

/* atomic CAS loop */
label_0231:

/* apply updated masks and issue writes again */
s_mov_b64 exec, s[46:47]                           // must try again
v_mov_b32 v10, v8                                  // dataV+2 = tmp (new original C)
v_mov_b32 v11, v9                                  // dataV+3 = tmp (new original C)
v_add_f64 v[8:9], v[10:11], v[vgprValuC+12:vgprValuC+12+1] // newC = rC + originalC
_buffer_atomic_cmpswap_b64 v[8:11], v6, s[sgprSrdD:sgprSrdD+3] 0 offen offset:0 glc   // attempt write
s_waitcnt vmcnt(0)                                 // wait for atomic writes

/* apply masks and check for success */
s_mov_b64 exec, s[46:47]                           // must try again
v_cmp_ne_u64 s[42:43], v[8:9], v[10:11]            // c read during atomic != c read during prior load
s_and_b64 s[46:47], s[42:43], s[46:47]             // inBounds & must try again

/* or masks to check for exit */
s_mov_b64 s[42:43], 0x0                            // empty mask
s_or_b64 s[42:43], s[46:47], s[42:43]              // or to add threads
s_or_saveexec_b64 s[44:45], s[42:43]               // apply combined mask
s_cbranch_execnz label_0231                        // try again if not complete
label_0232:
s_mov_b64 exec, -1                                 // full mask -> exec
s_nop 0                                            // 1 wait state required when next inst writes vgprs held by previous dwordx4 store inst
/* optSingleColVgpr=0 optSharedColVgpr=0 optSGPRUsage=None optSrdIncForRow=0 */

/******************************************/
/* Global Write Alpha Edge Batch #31 (d1,d0,vc1,vc0) = */
/*    (7,1,0,1:vw1:vaw:1)                 */
/******************************************/

/* calc coords, apply mask, and issue loads (if necessary) */
/* (d1,vc1,d0,vc0)=(7,0,1,1) */
s_mov_b32 s42, 65                                  // coordOffset0 d0=1 vc0=1
_v_add_co_u32 v4, vcc, v0, s42                     // coord0.2: coord0 += d0*sg0*VW + vc0
v_cmp_lt_u32 s[42:43], v4, s[sgprSizeI]            // coord0 < size0
v_cmp_lt_u32 s[46:47], v1, s[sgprSizeJ]            // coord1 < size1
s_and_b64 s[46:47], s[42:43], s[46:47]             // in0 && in1
_v_add_lshl_u32 v6, v3, v4, 0x3                    // scaleToBpe: accumulate d0 lower and *= bpe into Cin addr
v_cndmask_b32 v6, -1, v6, s[46:47]                 // LDD clip if OOB. offset
_buffer_load_b64 v[10:11], v6, s[sgprSrdD:sgprSrdD+3], 0, offen offset:0 // load D (atomic) bpm=8 vaw=1
v_accvgpr_read_b32 v[vgprValuC+12], acc62 // copy acc to vreg[62]
v_accvgpr_read_b32 v[vgprValuC+13], acc63 // copy acc to vreg[63]
s_nop 1                                            // 2 wait states required before reading vgpr

/* rC *= alpha batchElements=[(7, 1, 0, 1)] */
v_mul_f64 v[vgprValuC+12:vgprValuC+12+1], s[sgprAlpha:sgprAlpha+1], v[vgprValuC+12:vgprValuC+12+1] // *= alpha
s_waitcnt vmcnt(0)                                 // wait C (atomic)

/* issue first atomic writes */
s_mov_b64 exec, s[46:47]                           // sgprs -> exec (before atomic)
v_add_f64 v[8:9], v[10:11], v[vgprValuC+12:vgprValuC+12+1] // desired value
_buffer_atomic_cmpswap_b64 v[8:11], v6, s[sgprSrdD:sgprSrdD+3] 0 offen offset:0 glc   // attempt write
s_waitcnt vmcnt(0)                                 // wait for atomic writes

/* check success of writes, update masks */
s_mov_b64 exec, s[46:47]                           // sgprs -> exec
v_cmp_ne_u64 s[42:43], v[8:9], v[10:11]            // c read during atomic != c read during prior load
s_and_b64 s[46:47], s[42:43], s[46:47]             // inBounds & must try again

/* or masks to check for exit */
s_mov_b64 s[42:43], 0x0                            // empty mask
s_or_b64 s[42:43], s[46:47], s[42:43]              // or to add threads
s_or_saveexec_b64 s[44:45], s[42:43]               // apply combined mask
s_cbranch_execz label_0234                         // if exec is zero skip loop

/* atomic CAS loop */
label_0233:

/* apply updated masks and issue writes again */
s_mov_b64 exec, s[46:47]                           // must try again
v_mov_b32 v10, v8                                  // dataV+2 = tmp (new original C)
v_mov_b32 v11, v9                                  // dataV+3 = tmp (new original C)
v_add_f64 v[8:9], v[10:11], v[vgprValuC+12:vgprValuC+12+1] // newC = rC + originalC
_buffer_atomic_cmpswap_b64 v[8:11], v6, s[sgprSrdD:sgprSrdD+3] 0 offen offset:0 glc   // attempt write
s_waitcnt vmcnt(0)                                 // wait for atomic writes

/* apply masks and check for success */
s_mov_b64 exec, s[46:47]                           // must try again
v_cmp_ne_u64 s[42:43], v[8:9], v[10:11]            // c read during atomic != c read during prior load
s_and_b64 s[46:47], s[42:43], s[46:47]             // inBounds & must try again

/* or masks to check for exit */
s_mov_b64 s[42:43], 0x0                            // empty mask
s_or_b64 s[42:43], s[46:47], s[42:43]              // or to add threads
s_or_saveexec_b64 s[44:45], s[42:43]               // apply combined mask
s_cbranch_execnz label_0233                        // try again if not complete
label_0234:
s_mov_b64 exec, -1                                 // full mask -> exec
s_nop 0                                            // 1 wait state required when next inst writes vgprs held by previous dwordx4 store inst
/* optSingleColVgpr=0 optSharedColVgpr=0 optSGPRUsage=None optSrdIncForRow=0 */

/******************************************/
/* Global Write Alpha Edge Batch #32 (d1,d0,vc1,vc0) = */
/*    (8,0,0,0:vw1:vaw:1)                 */
/******************************************/

/* calc coords, apply mask, and issue loads (if necessary) */
/* (d1,vc1,d0,vc0)=(8,0,0,0) */
_v_add_co_u32 v1, vcc, v1, 20                      // coord1.1: coord1Vgpr += d1*sg1*VW + vc1

/* Fix for UseInitialStridesCD, emitAddressSetupCode */
s_mul_i32 s42, s[sgprStrideC1J], 20                // scale stride
_v_add_u32 v2, v2, s42                             // ROWINC- Move cinRowPtr to next row
s_mul_i32 s42, s[sgprStrideD1J], 20                // scale stride
_v_add_u32 v3, v3, s42                             // Move coutRowPtr to next row
v_cmp_lt_u32 s[42:43], v0, s[sgprSizeI]            // coord0 < size0
v_cmp_lt_u32 s[46:47], v1, s[sgprSizeJ]            // coord1 < size1
s_and_b64 s[46:47], s[42:43], s[46:47]             // in0 && in1
_v_add_lshl_u32 v6, v3, v0, 0x3                    // scaleToBpe: accumulate d0 lower and *= bpe into Cin addr
v_cndmask_b32 v6, -1, v6, s[46:47]                 // LDD clip if OOB. offset
_buffer_load_b64 v[10:11], v6, s[sgprSrdD:sgprSrdD+3], 0, offen offset:0 // load D (atomic) bpm=8 vaw=1
v_accvgpr_read_b32 v[vgprValuC+12], acc64 // copy acc to vreg[64]
v_accvgpr_read_b32 v[vgprValuC+13], acc65 // copy acc to vreg[65]
s_nop 1                                            // 2 wait states required before reading vgpr

/* rC *= alpha batchElements=[(8, 0, 0, 0)] */
v_mul_f64 v[vgprValuC+12:vgprValuC+12+1], s[sgprAlpha:sgprAlpha+1], v[vgprValuC+12:vgprValuC+12+1] // *= alpha
s_waitcnt vmcnt(0)                                 // wait C (atomic)

/* issue first atomic writes */
s_mov_b64 exec, s[46:47]                           // sgprs -> exec (before atomic)
v_add_f64 v[8:9], v[10:11], v[vgprValuC+12:vgprValuC+12+1] // desired value
_buffer_atomic_cmpswap_b64 v[8:11], v6, s[sgprSrdD:sgprSrdD+3] 0 offen offset:0 glc   // attempt write
s_waitcnt vmcnt(0)                                 // wait for atomic writes

/* check success of writes, update masks */
s_mov_b64 exec, s[46:47]                           // sgprs -> exec
v_cmp_ne_u64 s[42:43], v[8:9], v[10:11]            // c read during atomic != c read during prior load
s_and_b64 s[46:47], s[42:43], s[46:47]             // inBounds & must try again

/* or masks to check for exit */
s_mov_b64 s[42:43], 0x0                            // empty mask
s_or_b64 s[42:43], s[46:47], s[42:43]              // or to add threads
s_or_saveexec_b64 s[44:45], s[42:43]               // apply combined mask
s_cbranch_execz label_0236                         // if exec is zero skip loop

/* atomic CAS loop */
label_0235:

/* apply updated masks and issue writes again */
s_mov_b64 exec, s[46:47]                           // must try again
v_mov_b32 v10, v8                                  // dataV+2 = tmp (new original C)
v_mov_b32 v11, v9                                  // dataV+3 = tmp (new original C)
v_add_f64 v[8:9], v[10:11], v[vgprValuC+12:vgprValuC+12+1] // newC = rC + originalC
_buffer_atomic_cmpswap_b64 v[8:11], v6, s[sgprSrdD:sgprSrdD+3] 0 offen offset:0 glc   // attempt write
s_waitcnt vmcnt(0)                                 // wait for atomic writes

/* apply masks and check for success */
s_mov_b64 exec, s[46:47]                           // must try again
v_cmp_ne_u64 s[42:43], v[8:9], v[10:11]            // c read during atomic != c read during prior load
s_and_b64 s[46:47], s[42:43], s[46:47]             // inBounds & must try again

/* or masks to check for exit */
s_mov_b64 s[42:43], 0x0                            // empty mask
s_or_b64 s[42:43], s[46:47], s[42:43]              // or to add threads
s_or_saveexec_b64 s[44:45], s[42:43]               // apply combined mask
s_cbranch_execnz label_0235                        // try again if not complete
label_0236:
s_mov_b64 exec, -1                                 // full mask -> exec
s_nop 0                                            // 1 wait state required when next inst writes vgprs held by previous dwordx4 store inst
/* optSingleColVgpr=0 optSharedColVgpr=0 optSGPRUsage=None optSrdIncForRow=0 */

/******************************************/
/* Global Write Alpha Edge Batch #33 (d1,d0,vc1,vc0) = */
/*    (8,0,0,1:vw1:vaw:1)                 */
/******************************************/

/* calc coords, apply mask, and issue loads (if necessary) */
/* (d1,vc1,d0,vc0)=(8,0,0,1) */
_v_add_co_u32 v4, vcc, v0, 1                       // coord0.1: coord0 += d0*sg0*VW + vc0
v_cmp_lt_u32 s[42:43], v4, s[sgprSizeI]            // coord0 < size0
v_cmp_lt_u32 s[46:47], v1, s[sgprSizeJ]            // coord1 < size1
s_and_b64 s[46:47], s[42:43], s[46:47]             // in0 && in1
_v_add_lshl_u32 v6, v3, v4, 0x3                    // scaleToBpe: accumulate d0 lower and *= bpe into Cin addr
v_cndmask_b32 v6, -1, v6, s[46:47]                 // LDD clip if OOB. offset
_buffer_load_b64 v[10:11], v6, s[sgprSrdD:sgprSrdD+3], 0, offen offset:0 // load D (atomic) bpm=8 vaw=1
v_accvgpr_read_b32 v[vgprValuC+12], acc72 // copy acc to vreg[66]
v_accvgpr_read_b32 v[vgprValuC+13], acc73 // copy acc to vreg[67]
s_nop 1                                            // 2 wait states required before reading vgpr

/* rC *= alpha batchElements=[(8, 0, 0, 1)] */
v_mul_f64 v[vgprValuC+12:vgprValuC+12+1], s[sgprAlpha:sgprAlpha+1], v[vgprValuC+12:vgprValuC+12+1] // *= alpha
s_waitcnt vmcnt(0)                                 // wait C (atomic)

/* issue first atomic writes */
s_mov_b64 exec, s[46:47]                           // sgprs -> exec (before atomic)
v_add_f64 v[8:9], v[10:11], v[vgprValuC+12:vgprValuC+12+1] // desired value
_buffer_atomic_cmpswap_b64 v[8:11], v6, s[sgprSrdD:sgprSrdD+3] 0 offen offset:0 glc   // attempt write
s_waitcnt vmcnt(0)                                 // wait for atomic writes

/* check success of writes, update masks */
s_mov_b64 exec, s[46:47]                           // sgprs -> exec
v_cmp_ne_u64 s[42:43], v[8:9], v[10:11]            // c read during atomic != c read during prior load
s_and_b64 s[46:47], s[42:43], s[46:47]             // inBounds & must try again

/* or masks to check for exit */
s_mov_b64 s[42:43], 0x0                            // empty mask
s_or_b64 s[42:43], s[46:47], s[42:43]              // or to add threads
s_or_saveexec_b64 s[44:45], s[42:43]               // apply combined mask
s_cbranch_execz label_0238                         // if exec is zero skip loop

/* atomic CAS loop */
label_0237:

/* apply updated masks and issue writes again */
s_mov_b64 exec, s[46:47]                           // must try again
v_mov_b32 v10, v8                                  // dataV+2 = tmp (new original C)
v_mov_b32 v11, v9                                  // dataV+3 = tmp (new original C)
v_add_f64 v[8:9], v[10:11], v[vgprValuC+12:vgprValuC+12+1] // newC = rC + originalC
_buffer_atomic_cmpswap_b64 v[8:11], v6, s[sgprSrdD:sgprSrdD+3] 0 offen offset:0 glc   // attempt write
s_waitcnt vmcnt(0)                                 // wait for atomic writes

/* apply masks and check for success */
s_mov_b64 exec, s[46:47]                           // must try again
v_cmp_ne_u64 s[42:43], v[8:9], v[10:11]            // c read during atomic != c read during prior load
s_and_b64 s[46:47], s[42:43], s[46:47]             // inBounds & must try again

/* or masks to check for exit */
s_mov_b64 s[42:43], 0x0                            // empty mask
s_or_b64 s[42:43], s[46:47], s[42:43]              // or to add threads
s_or_saveexec_b64 s[44:45], s[42:43]               // apply combined mask
s_cbranch_execnz label_0237                        // try again if not complete
label_0238:
s_mov_b64 exec, -1                                 // full mask -> exec
s_nop 0                                            // 1 wait state required when next inst writes vgprs held by previous dwordx4 store inst
/* optSingleColVgpr=0 optSharedColVgpr=0 optSGPRUsage=None optSrdIncForRow=0 */

/******************************************/
/* Global Write Alpha Edge Batch #34 (d1,d0,vc1,vc0) = */
/*    (8,1,0,0:vw1:vaw:1)                 */
/******************************************/

/* calc coords, apply mask, and issue loads (if necessary) */
/* (d1,vc1,d0,vc0)=(8,0,1,0) */
_v_add_co_u32 v4, vcc, v0, 64                      // coord0.1: coord0 += d0*sg0*VW + vc0
v_cmp_lt_u32 s[42:43], v4, s[sgprSizeI]            // coord0 < size0
v_cmp_lt_u32 s[46:47], v1, s[sgprSizeJ]            // coord1 < size1
s_and_b64 s[46:47], s[42:43], s[46:47]             // in0 && in1
_v_add_lshl_u32 v6, v3, v4, 0x3                    // scaleToBpe: accumulate d0 lower and *= bpe into Cin addr
v_cndmask_b32 v6, -1, v6, s[46:47]                 // LDD clip if OOB. offset
_buffer_load_b64 v[10:11], v6, s[sgprSrdD:sgprSrdD+3], 0, offen offset:0 // load D (atomic) bpm=8 vaw=1
v_accvgpr_read_b32 v[vgprValuC+12], acc80 // copy acc to vreg[68]
v_accvgpr_read_b32 v[vgprValuC+13], acc81 // copy acc to vreg[69]
s_nop 1                                            // 2 wait states required before reading vgpr

/* rC *= alpha batchElements=[(8, 1, 0, 0)] */
v_mul_f64 v[vgprValuC+12:vgprValuC+12+1], s[sgprAlpha:sgprAlpha+1], v[vgprValuC+12:vgprValuC+12+1] // *= alpha
s_waitcnt vmcnt(0)                                 // wait C (atomic)

/* issue first atomic writes */
s_mov_b64 exec, s[46:47]                           // sgprs -> exec (before atomic)
v_add_f64 v[8:9], v[10:11], v[vgprValuC+12:vgprValuC+12+1] // desired value
_buffer_atomic_cmpswap_b64 v[8:11], v6, s[sgprSrdD:sgprSrdD+3] 0 offen offset:0 glc   // attempt write
s_waitcnt vmcnt(0)                                 // wait for atomic writes

/* check success of writes, update masks */
s_mov_b64 exec, s[46:47]                           // sgprs -> exec
v_cmp_ne_u64 s[42:43], v[8:9], v[10:11]            // c read during atomic != c read during prior load
s_and_b64 s[46:47], s[42:43], s[46:47]             // inBounds & must try again

/* or masks to check for exit */
s_mov_b64 s[42:43], 0x0                            // empty mask
s_or_b64 s[42:43], s[46:47], s[42:43]              // or to add threads
s_or_saveexec_b64 s[44:45], s[42:43]               // apply combined mask
s_cbranch_execz label_0240                         // if exec is zero skip loop

/* atomic CAS loop */
label_0239:

/* apply updated masks and issue writes again */
s_mov_b64 exec, s[46:47]                           // must try again
v_mov_b32 v10, v8                                  // dataV+2 = tmp (new original C)
v_mov_b32 v11, v9                                  // dataV+3 = tmp (new original C)
v_add_f64 v[8:9], v[10:11], v[vgprValuC+12:vgprValuC+12+1] // newC = rC + originalC
_buffer_atomic_cmpswap_b64 v[8:11], v6, s[sgprSrdD:sgprSrdD+3] 0 offen offset:0 glc   // attempt write
s_waitcnt vmcnt(0)                                 // wait for atomic writes

/* apply masks and check for success */
s_mov_b64 exec, s[46:47]                           // must try again
v_cmp_ne_u64 s[42:43], v[8:9], v[10:11]            // c read during atomic != c read during prior load
s_and_b64 s[46:47], s[42:43], s[46:47]             // inBounds & must try again

/* or masks to check for exit */
s_mov_b64 s[42:43], 0x0                            // empty mask
s_or_b64 s[42:43], s[46:47], s[42:43]              // or to add threads
s_or_saveexec_b64 s[44:45], s[42:43]               // apply combined mask
s_cbranch_execnz label_0239                        // try again if not complete
label_0240:
s_mov_b64 exec, -1                                 // full mask -> exec
s_nop 0                                            // 1 wait state required when next inst writes vgprs held by previous dwordx4 store inst
/* optSingleColVgpr=0 optSharedColVgpr=0 optSGPRUsage=None optSrdIncForRow=0 */

/******************************************/
/* Global Write Alpha Edge Batch #35 (d1,d0,vc1,vc0) = */
/*    (8,1,0,1:vw1:vaw:1)                 */
/******************************************/

/* calc coords, apply mask, and issue loads (if necessary) */
/* (d1,vc1,d0,vc0)=(8,0,1,1) */
s_mov_b32 s42, 65                                  // coordOffset0 d0=1 vc0=1
_v_add_co_u32 v4, vcc, v0, s42                     // coord0.2: coord0 += d0*sg0*VW + vc0
v_cmp_lt_u32 s[42:43], v4, s[sgprSizeI]            // coord0 < size0
v_cmp_lt_u32 s[46:47], v1, s[sgprSizeJ]            // coord1 < size1
s_and_b64 s[46:47], s[42:43], s[46:47]             // in0 && in1
_v_add_lshl_u32 v6, v3, v4, 0x3                    // scaleToBpe: accumulate d0 lower and *= bpe into Cin addr
v_cndmask_b32 v6, -1, v6, s[46:47]                 // LDD clip if OOB. offset
_buffer_load_b64 v[10:11], v6, s[sgprSrdD:sgprSrdD+3], 0, offen offset:0 // load D (atomic) bpm=8 vaw=1
v_accvgpr_read_b32 v[vgprValuC+12], acc88 // copy acc to vreg[70]
v_accvgpr_read_b32 v[vgprValuC+13], acc89 // copy acc to vreg[71]
s_nop 1                                            // 2 wait states required before reading vgpr

/* rC *= alpha batchElements=[(8, 1, 0, 1)] */
v_mul_f64 v[vgprValuC+12:vgprValuC+12+1], s[sgprAlpha:sgprAlpha+1], v[vgprValuC+12:vgprValuC+12+1] // *= alpha
s_waitcnt vmcnt(0)                                 // wait C (atomic)

/* issue first atomic writes */
s_mov_b64 exec, s[46:47]                           // sgprs -> exec (before atomic)
v_add_f64 v[8:9], v[10:11], v[vgprValuC+12:vgprValuC+12+1] // desired value
_buffer_atomic_cmpswap_b64 v[8:11], v6, s[sgprSrdD:sgprSrdD+3] 0 offen offset:0 glc   // attempt write
s_waitcnt vmcnt(0)                                 // wait for atomic writes

/* check success of writes, update masks */
s_mov_b64 exec, s[46:47]                           // sgprs -> exec
v_cmp_ne_u64 s[42:43], v[8:9], v[10:11]            // c read during atomic != c read during prior load
s_and_b64 s[46:47], s[42:43], s[46:47]             // inBounds & must try again

/* or masks to check for exit */
s_mov_b64 s[42:43], 0x0                            // empty mask
s_or_b64 s[42:43], s[46:47], s[42:43]              // or to add threads
s_or_saveexec_b64 s[44:45], s[42:43]               // apply combined mask
s_cbranch_execz label_0242                         // if exec is zero skip loop

/* atomic CAS loop */
label_0241:

/* apply updated masks and issue writes again */
s_mov_b64 exec, s[46:47]                           // must try again
v_mov_b32 v10, v8                                  // dataV+2 = tmp (new original C)
v_mov_b32 v11, v9                                  // dataV+3 = tmp (new original C)
v_add_f64 v[8:9], v[10:11], v[vgprValuC+12:vgprValuC+12+1] // newC = rC + originalC
_buffer_atomic_cmpswap_b64 v[8:11], v6, s[sgprSrdD:sgprSrdD+3] 0 offen offset:0 glc   // attempt write
s_waitcnt vmcnt(0)                                 // wait for atomic writes

/* apply masks and check for success */
s_mov_b64 exec, s[46:47]                           // must try again
v_cmp_ne_u64 s[42:43], v[8:9], v[10:11]            // c read during atomic != c read during prior load
s_and_b64 s[46:47], s[42:43], s[46:47]             // inBounds & must try again

/* or masks to check for exit */
s_mov_b64 s[42:43], 0x0                            // empty mask
s_or_b64 s[42:43], s[46:47], s[42:43]              // or to add threads
s_or_saveexec_b64 s[44:45], s[42:43]               // apply combined mask
s_cbranch_execnz label_0241                        // try again if not complete
label_0242:
s_mov_b64 exec, -1                                 // full mask -> exec
s_nop 0                                            // 1 wait state required when next inst writes vgprs held by previous dwordx4 store inst
/* optSingleColVgpr=0 optSharedColVgpr=0 optSGPRUsage=None optSrdIncForRow=0 */

/******************************************/
/* Global Write Alpha Edge Batch #36 (d1,d0,vc1,vc0) = */
/*    (9,0,0,0:vw1:vaw:1)                 */
/******************************************/

/* calc coords, apply mask, and issue loads (if necessary) */
/* (d1,vc1,d0,vc0)=(9,0,0,0) */
_v_add_co_u32 v1, vcc, v1, 4                       // coord1.1: coord1Vgpr += d1*sg1*VW + vc1

/* Fix for UseInitialStridesCD, emitAddressSetupCode */
s_mul_i32 s42, s[sgprStrideC1J], 4                 // scale stride
_v_add_u32 v2, v2, s42                             // ROWINC- Move cinRowPtr to next row
s_mul_i32 s42, s[sgprStrideD1J], 4                 // scale stride
_v_add_u32 v3, v3, s42                             // Move coutRowPtr to next row
v_cmp_lt_u32 s[42:43], v0, s[sgprSizeI]            // coord0 < size0
v_cmp_lt_u32 s[46:47], v1, s[sgprSizeJ]            // coord1 < size1
s_and_b64 s[46:47], s[42:43], s[46:47]             // in0 && in1
_v_add_lshl_u32 v6, v3, v0, 0x3                    // scaleToBpe: accumulate d0 lower and *= bpe into Cin addr
v_cndmask_b32 v6, -1, v6, s[46:47]                 // LDD clip if OOB. offset
_buffer_load_b64 v[10:11], v6, s[sgprSrdD:sgprSrdD+3], 0, offen offset:0 // load D (atomic) bpm=8 vaw=1
v_accvgpr_read_b32 v[vgprValuC+12], acc66 // copy acc to vreg[72]
v_accvgpr_read_b32 v[vgprValuC+13], acc67 // copy acc to vreg[73]
s_nop 1                                            // 2 wait states required before reading vgpr

/* rC *= alpha batchElements=[(9, 0, 0, 0)] */
v_mul_f64 v[vgprValuC+12:vgprValuC+12+1], s[sgprAlpha:sgprAlpha+1], v[vgprValuC+12:vgprValuC+12+1] // *= alpha
s_waitcnt vmcnt(0)                                 // wait C (atomic)

/* issue first atomic writes */
s_mov_b64 exec, s[46:47]                           // sgprs -> exec (before atomic)
v_add_f64 v[8:9], v[10:11], v[vgprValuC+12:vgprValuC+12+1] // desired value
_buffer_atomic_cmpswap_b64 v[8:11], v6, s[sgprSrdD:sgprSrdD+3] 0 offen offset:0 glc   // attempt write
s_waitcnt vmcnt(0)                                 // wait for atomic writes

/* check success of writes, update masks */
s_mov_b64 exec, s[46:47]                           // sgprs -> exec
v_cmp_ne_u64 s[42:43], v[8:9], v[10:11]            // c read during atomic != c read during prior load
s_and_b64 s[46:47], s[42:43], s[46:47]             // inBounds & must try again

/* or masks to check for exit */
s_mov_b64 s[42:43], 0x0                            // empty mask
s_or_b64 s[42:43], s[46:47], s[42:43]              // or to add threads
s_or_saveexec_b64 s[44:45], s[42:43]               // apply combined mask
s_cbranch_execz label_0244                         // if exec is zero skip loop

/* atomic CAS loop */
label_0243:

/* apply updated masks and issue writes again */
s_mov_b64 exec, s[46:47]                           // must try again
v_mov_b32 v10, v8                                  // dataV+2 = tmp (new original C)
v_mov_b32 v11, v9                                  // dataV+3 = tmp (new original C)
v_add_f64 v[8:9], v[10:11], v[vgprValuC+12:vgprValuC+12+1] // newC = rC + originalC
_buffer_atomic_cmpswap_b64 v[8:11], v6, s[sgprSrdD:sgprSrdD+3] 0 offen offset:0 glc   // attempt write
s_waitcnt vmcnt(0)                                 // wait for atomic writes

/* apply masks and check for success */
s_mov_b64 exec, s[46:47]                           // must try again
v_cmp_ne_u64 s[42:43], v[8:9], v[10:11]            // c read during atomic != c read during prior load
s_and_b64 s[46:47], s[42:43], s[46:47]             // inBounds & must try again

/* or masks to check for exit */
s_mov_b64 s[42:43], 0x0                            // empty mask
s_or_b64 s[42:43], s[46:47], s[42:43]              // or to add threads
s_or_saveexec_b64 s[44:45], s[42:43]               // apply combined mask
s_cbranch_execnz label_0243                        // try again if not complete
label_0244:
s_mov_b64 exec, -1                                 // full mask -> exec
s_nop 0                                            // 1 wait state required when next inst writes vgprs held by previous dwordx4 store inst
/* optSingleColVgpr=0 optSharedColVgpr=0 optSGPRUsage=None optSrdIncForRow=0 */

/******************************************/
/* Global Write Alpha Edge Batch #37 (d1,d0,vc1,vc0) = */
/*    (9,0,0,1:vw1:vaw:1)                 */
/******************************************/

/* calc coords, apply mask, and issue loads (if necessary) */
/* (d1,vc1,d0,vc0)=(9,0,0,1) */
_v_add_co_u32 v4, vcc, v0, 1                       // coord0.1: coord0 += d0*sg0*VW + vc0
v_cmp_lt_u32 s[42:43], v4, s[sgprSizeI]            // coord0 < size0
v_cmp_lt_u32 s[46:47], v1, s[sgprSizeJ]            // coord1 < size1
s_and_b64 s[46:47], s[42:43], s[46:47]             // in0 && in1
_v_add_lshl_u32 v6, v3, v4, 0x3                    // scaleToBpe: accumulate d0 lower and *= bpe into Cin addr
v_cndmask_b32 v6, -1, v6, s[46:47]                 // LDD clip if OOB. offset
_buffer_load_b64 v[10:11], v6, s[sgprSrdD:sgprSrdD+3], 0, offen offset:0 // load D (atomic) bpm=8 vaw=1
v_accvgpr_read_b32 v[vgprValuC+12], acc74 // copy acc to vreg[74]
v_accvgpr_read_b32 v[vgprValuC+13], acc75 // copy acc to vreg[75]
s_nop 1                                            // 2 wait states required before reading vgpr

/* rC *= alpha batchElements=[(9, 0, 0, 1)] */
v_mul_f64 v[vgprValuC+12:vgprValuC+12+1], s[sgprAlpha:sgprAlpha+1], v[vgprValuC+12:vgprValuC+12+1] // *= alpha
s_waitcnt vmcnt(0)                                 // wait C (atomic)

/* issue first atomic writes */
s_mov_b64 exec, s[46:47]                           // sgprs -> exec (before atomic)
v_add_f64 v[8:9], v[10:11], v[vgprValuC+12:vgprValuC+12+1] // desired value
_buffer_atomic_cmpswap_b64 v[8:11], v6, s[sgprSrdD:sgprSrdD+3] 0 offen offset:0 glc   // attempt write
s_waitcnt vmcnt(0)                                 // wait for atomic writes

/* check success of writes, update masks */
s_mov_b64 exec, s[46:47]                           // sgprs -> exec
v_cmp_ne_u64 s[42:43], v[8:9], v[10:11]            // c read during atomic != c read during prior load
s_and_b64 s[46:47], s[42:43], s[46:47]             // inBounds & must try again

/* or masks to check for exit */
s_mov_b64 s[42:43], 0x0                            // empty mask
s_or_b64 s[42:43], s[46:47], s[42:43]              // or to add threads
s_or_saveexec_b64 s[44:45], s[42:43]               // apply combined mask
s_cbranch_execz label_0246                         // if exec is zero skip loop

/* atomic CAS loop */
label_0245:

/* apply updated masks and issue writes again */
s_mov_b64 exec, s[46:47]                           // must try again
v_mov_b32 v10, v8                                  // dataV+2 = tmp (new original C)
v_mov_b32 v11, v9                                  // dataV+3 = tmp (new original C)
v_add_f64 v[8:9], v[10:11], v[vgprValuC+12:vgprValuC+12+1] // newC = rC + originalC
_buffer_atomic_cmpswap_b64 v[8:11], v6, s[sgprSrdD:sgprSrdD+3] 0 offen offset:0 glc   // attempt write
s_waitcnt vmcnt(0)                                 // wait for atomic writes

/* apply masks and check for success */
s_mov_b64 exec, s[46:47]                           // must try again
v_cmp_ne_u64 s[42:43], v[8:9], v[10:11]            // c read during atomic != c read during prior load
s_and_b64 s[46:47], s[42:43], s[46:47]             // inBounds & must try again

/* or masks to check for exit */
s_mov_b64 s[42:43], 0x0                            // empty mask
s_or_b64 s[42:43], s[46:47], s[42:43]              // or to add threads
s_or_saveexec_b64 s[44:45], s[42:43]               // apply combined mask
s_cbranch_execnz label_0245                        // try again if not complete
label_0246:
s_mov_b64 exec, -1                                 // full mask -> exec
s_nop 0                                            // 1 wait state required when next inst writes vgprs held by previous dwordx4 store inst
/* optSingleColVgpr=0 optSharedColVgpr=0 optSGPRUsage=None optSrdIncForRow=0 */

/******************************************/
/* Global Write Alpha Edge Batch #38 (d1,d0,vc1,vc0) = */
/*    (9,1,0,0:vw1:vaw:1)                 */
/******************************************/

/* calc coords, apply mask, and issue loads (if necessary) */
/* (d1,vc1,d0,vc0)=(9,0,1,0) */
_v_add_co_u32 v4, vcc, v0, 64                      // coord0.1: coord0 += d0*sg0*VW + vc0
v_cmp_lt_u32 s[42:43], v4, s[sgprSizeI]            // coord0 < size0
v_cmp_lt_u32 s[46:47], v1, s[sgprSizeJ]            // coord1 < size1
s_and_b64 s[46:47], s[42:43], s[46:47]             // in0 && in1
_v_add_lshl_u32 v6, v3, v4, 0x3                    // scaleToBpe: accumulate d0 lower and *= bpe into Cin addr
v_cndmask_b32 v6, -1, v6, s[46:47]                 // LDD clip if OOB. offset
_buffer_load_b64 v[10:11], v6, s[sgprSrdD:sgprSrdD+3], 0, offen offset:0 // load D (atomic) bpm=8 vaw=1
v_accvgpr_read_b32 v[vgprValuC+12], acc82 // copy acc to vreg[76]
v_accvgpr_read_b32 v[vgprValuC+13], acc83 // copy acc to vreg[77]
s_nop 1                                            // 2 wait states required before reading vgpr

/* rC *= alpha batchElements=[(9, 1, 0, 0)] */
v_mul_f64 v[vgprValuC+12:vgprValuC+12+1], s[sgprAlpha:sgprAlpha+1], v[vgprValuC+12:vgprValuC+12+1] // *= alpha
s_waitcnt vmcnt(0)                                 // wait C (atomic)

/* issue first atomic writes */
s_mov_b64 exec, s[46:47]                           // sgprs -> exec (before atomic)
v_add_f64 v[8:9], v[10:11], v[vgprValuC+12:vgprValuC+12+1] // desired value
_buffer_atomic_cmpswap_b64 v[8:11], v6, s[sgprSrdD:sgprSrdD+3] 0 offen offset:0 glc   // attempt write
s_waitcnt vmcnt(0)                                 // wait for atomic writes

/* check success of writes, update masks */
s_mov_b64 exec, s[46:47]                           // sgprs -> exec
v_cmp_ne_u64 s[42:43], v[8:9], v[10:11]            // c read during atomic != c read during prior load
s_and_b64 s[46:47], s[42:43], s[46:47]             // inBounds & must try again

/* or masks to check for exit */
s_mov_b64 s[42:43], 0x0                            // empty mask
s_or_b64 s[42:43], s[46:47], s[42:43]              // or to add threads
s_or_saveexec_b64 s[44:45], s[42:43]               // apply combined mask
s_cbranch_execz label_0248                         // if exec is zero skip loop

/* atomic CAS loop */
label_0247:

/* apply updated masks and issue writes again */
s_mov_b64 exec, s[46:47]                           // must try again
v_mov_b32 v10, v8                                  // dataV+2 = tmp (new original C)
v_mov_b32 v11, v9                                  // dataV+3 = tmp (new original C)
v_add_f64 v[8:9], v[10:11], v[vgprValuC+12:vgprValuC+12+1] // newC = rC + originalC
_buffer_atomic_cmpswap_b64 v[8:11], v6, s[sgprSrdD:sgprSrdD+3] 0 offen offset:0 glc   // attempt write
s_waitcnt vmcnt(0)                                 // wait for atomic writes

/* apply masks and check for success */
s_mov_b64 exec, s[46:47]                           // must try again
v_cmp_ne_u64 s[42:43], v[8:9], v[10:11]            // c read during atomic != c read during prior load
s_and_b64 s[46:47], s[42:43], s[46:47]             // inBounds & must try again

/* or masks to check for exit */
s_mov_b64 s[42:43], 0x0                            // empty mask
s_or_b64 s[42:43], s[46:47], s[42:43]              // or to add threads
s_or_saveexec_b64 s[44:45], s[42:43]               // apply combined mask
s_cbranch_execnz label_0247                        // try again if not complete
label_0248:
s_mov_b64 exec, -1                                 // full mask -> exec
s_nop 0                                            // 1 wait state required when next inst writes vgprs held by previous dwordx4 store inst
/* optSingleColVgpr=0 optSharedColVgpr=0 optSGPRUsage=None optSrdIncForRow=0 */

/******************************************/
/* Global Write Alpha Edge Batch #39 (d1,d0,vc1,vc0) = */
/*    (9,1,0,1:vw1:vaw:1)                 */
/******************************************/

/* calc coords, apply mask, and issue loads (if necessary) */
/* (d1,vc1,d0,vc0)=(9,0,1,1) */
s_mov_b32 s42, 65                                  // coordOffset0 d0=1 vc0=1
_v_add_co_u32 v4, vcc, v0, s42                     // coord0.2: coord0 += d0*sg0*VW + vc0
v_cmp_lt_u32 s[42:43], v4, s[sgprSizeI]            // coord0 < size0
v_cmp_lt_u32 s[46:47], v1, s[sgprSizeJ]            // coord1 < size1
s_and_b64 s[46:47], s[42:43], s[46:47]             // in0 && in1
_v_add_lshl_u32 v6, v3, v4, 0x3                    // scaleToBpe: accumulate d0 lower and *= bpe into Cin addr
v_cndmask_b32 v6, -1, v6, s[46:47]                 // LDD clip if OOB. offset
_buffer_load_b64 v[10:11], v6, s[sgprSrdD:sgprSrdD+3], 0, offen offset:0 // load D (atomic) bpm=8 vaw=1
v_accvgpr_read_b32 v[vgprValuC+12], acc90 // copy acc to vreg[78]
v_accvgpr_read_b32 v[vgprValuC+13], acc91 // copy acc to vreg[79]
s_nop 1                                            // 2 wait states required before reading vgpr

/* rC *= alpha batchElements=[(9, 1, 0, 1)] */
v_mul_f64 v[vgprValuC+12:vgprValuC+12+1], s[sgprAlpha:sgprAlpha+1], v[vgprValuC+12:vgprValuC+12+1] // *= alpha
s_waitcnt vmcnt(0)                                 // wait C (atomic)

/* issue first atomic writes */
s_mov_b64 exec, s[46:47]                           // sgprs -> exec (before atomic)
v_add_f64 v[8:9], v[10:11], v[vgprValuC+12:vgprValuC+12+1] // desired value
_buffer_atomic_cmpswap_b64 v[8:11], v6, s[sgprSrdD:sgprSrdD+3] 0 offen offset:0 glc   // attempt write
s_waitcnt vmcnt(0)                                 // wait for atomic writes

/* check success of writes, update masks */
s_mov_b64 exec, s[46:47]                           // sgprs -> exec
v_cmp_ne_u64 s[42:43], v[8:9], v[10:11]            // c read during atomic != c read during prior load
s_and_b64 s[46:47], s[42:43], s[46:47]             // inBounds & must try again

/* or masks to check for exit */
s_mov_b64 s[42:43], 0x0                            // empty mask
s_or_b64 s[42:43], s[46:47], s[42:43]              // or to add threads
s_or_saveexec_b64 s[44:45], s[42:43]               // apply combined mask
s_cbranch_execz label_0250                         // if exec is zero skip loop

/* atomic CAS loop */
label_0249:

/* apply updated masks and issue writes again */
s_mov_b64 exec, s[46:47]                           // must try again
v_mov_b32 v10, v8                                  // dataV+2 = tmp (new original C)
v_mov_b32 v11, v9                                  // dataV+3 = tmp (new original C)
v_add_f64 v[8:9], v[10:11], v[vgprValuC+12:vgprValuC+12+1] // newC = rC + originalC
_buffer_atomic_cmpswap_b64 v[8:11], v6, s[sgprSrdD:sgprSrdD+3] 0 offen offset:0 glc   // attempt write
s_waitcnt vmcnt(0)                                 // wait for atomic writes

/* apply masks and check for success */
s_mov_b64 exec, s[46:47]                           // must try again
v_cmp_ne_u64 s[42:43], v[8:9], v[10:11]            // c read during atomic != c read during prior load
s_and_b64 s[46:47], s[42:43], s[46:47]             // inBounds & must try again

/* or masks to check for exit */
s_mov_b64 s[42:43], 0x0                            // empty mask
s_or_b64 s[42:43], s[46:47], s[42:43]              // or to add threads
s_or_saveexec_b64 s[44:45], s[42:43]               // apply combined mask
s_cbranch_execnz label_0249                        // try again if not complete
label_0250:
s_mov_b64 exec, -1                                 // full mask -> exec
s_nop 0                                            // 1 wait state required when next inst writes vgprs held by previous dwordx4 store inst
/* optSingleColVgpr=0 optSharedColVgpr=0 optSGPRUsage=None optSrdIncForRow=0 */

/******************************************/
/* Global Write Alpha Edge Batch #40 (d1,d0,vc1,vc0) = */
/*    (10,0,0,0:vw1:vaw:1)                */
/******************************************/

/* calc coords, apply mask, and issue loads (if necessary) */
/* (d1,vc1,d0,vc0)=(10,0,0,0) */
_v_add_co_u32 v1, vcc, v1, 4                       // coord1.1: coord1Vgpr += d1*sg1*VW + vc1

/* Fix for UseInitialStridesCD, emitAddressSetupCode */
s_mul_i32 s42, s[sgprStrideC1J], 4                 // scale stride
_v_add_u32 v2, v2, s42                             // ROWINC- Move cinRowPtr to next row
s_mul_i32 s42, s[sgprStrideD1J], 4                 // scale stride
_v_add_u32 v3, v3, s42                             // Move coutRowPtr to next row
v_cmp_lt_u32 s[42:43], v0, s[sgprSizeI]            // coord0 < size0
v_cmp_lt_u32 s[46:47], v1, s[sgprSizeJ]            // coord1 < size1
s_and_b64 s[46:47], s[42:43], s[46:47]             // in0 && in1
_v_add_lshl_u32 v6, v3, v0, 0x3                    // scaleToBpe: accumulate d0 lower and *= bpe into Cin addr
v_cndmask_b32 v6, -1, v6, s[46:47]                 // LDD clip if OOB. offset
_buffer_load_b64 v[10:11], v6, s[sgprSrdD:sgprSrdD+3], 0, offen offset:0 // load D (atomic) bpm=8 vaw=1
v_accvgpr_read_b32 v[vgprValuC+12], acc68 // copy acc to vreg[80]
v_accvgpr_read_b32 v[vgprValuC+13], acc69 // copy acc to vreg[81]
s_nop 1                                            // 2 wait states required before reading vgpr

/* rC *= alpha batchElements=[(10, 0, 0, 0)] */
v_mul_f64 v[vgprValuC+12:vgprValuC+12+1], s[sgprAlpha:sgprAlpha+1], v[vgprValuC+12:vgprValuC+12+1] // *= alpha
s_waitcnt vmcnt(0)                                 // wait C (atomic)

/* issue first atomic writes */
s_mov_b64 exec, s[46:47]                           // sgprs -> exec (before atomic)
v_add_f64 v[8:9], v[10:11], v[vgprValuC+12:vgprValuC+12+1] // desired value
_buffer_atomic_cmpswap_b64 v[8:11], v6, s[sgprSrdD:sgprSrdD+3] 0 offen offset:0 glc   // attempt write
s_waitcnt vmcnt(0)                                 // wait for atomic writes

/* check success of writes, update masks */
s_mov_b64 exec, s[46:47]                           // sgprs -> exec
v_cmp_ne_u64 s[42:43], v[8:9], v[10:11]            // c read during atomic != c read during prior load
s_and_b64 s[46:47], s[42:43], s[46:47]             // inBounds & must try again

/* or masks to check for exit */
s_mov_b64 s[42:43], 0x0                            // empty mask
s_or_b64 s[42:43], s[46:47], s[42:43]              // or to add threads
s_or_saveexec_b64 s[44:45], s[42:43]               // apply combined mask
s_cbranch_execz label_0252                         // if exec is zero skip loop

/* atomic CAS loop */
label_0251:

/* apply updated masks and issue writes again */
s_mov_b64 exec, s[46:47]                           // must try again
v_mov_b32 v10, v8                                  // dataV+2 = tmp (new original C)
v_mov_b32 v11, v9                                  // dataV+3 = tmp (new original C)
v_add_f64 v[8:9], v[10:11], v[vgprValuC+12:vgprValuC+12+1] // newC = rC + originalC
_buffer_atomic_cmpswap_b64 v[8:11], v6, s[sgprSrdD:sgprSrdD+3] 0 offen offset:0 glc   // attempt write
s_waitcnt vmcnt(0)                                 // wait for atomic writes

/* apply masks and check for success */
s_mov_b64 exec, s[46:47]                           // must try again
v_cmp_ne_u64 s[42:43], v[8:9], v[10:11]            // c read during atomic != c read during prior load
s_and_b64 s[46:47], s[42:43], s[46:47]             // inBounds & must try again

/* or masks to check for exit */
s_mov_b64 s[42:43], 0x0                            // empty mask
s_or_b64 s[42:43], s[46:47], s[42:43]              // or to add threads
s_or_saveexec_b64 s[44:45], s[42:43]               // apply combined mask
s_cbranch_execnz label_0251                        // try again if not complete
label_0252:
s_mov_b64 exec, -1                                 // full mask -> exec
s_nop 0                                            // 1 wait state required when next inst writes vgprs held by previous dwordx4 store inst
/* optSingleColVgpr=0 optSharedColVgpr=0 optSGPRUsage=None optSrdIncForRow=0 */

/******************************************/
/* Global Write Alpha Edge Batch #41 (d1,d0,vc1,vc0) = */
/*    (10,0,0,1:vw1:vaw:1)                */
/******************************************/

/* calc coords, apply mask, and issue loads (if necessary) */
/* (d1,vc1,d0,vc0)=(10,0,0,1) */
_v_add_co_u32 v4, vcc, v0, 1                       // coord0.1: coord0 += d0*sg0*VW + vc0
v_cmp_lt_u32 s[42:43], v4, s[sgprSizeI]            // coord0 < size0
v_cmp_lt_u32 s[46:47], v1, s[sgprSizeJ]            // coord1 < size1
s_and_b64 s[46:47], s[42:43], s[46:47]             // in0 && in1
_v_add_lshl_u32 v6, v3, v4, 0x3                    // scaleToBpe: accumulate d0 lower and *= bpe into Cin addr
v_cndmask_b32 v6, -1, v6, s[46:47]                 // LDD clip if OOB. offset
_buffer_load_b64 v[10:11], v6, s[sgprSrdD:sgprSrdD+3], 0, offen offset:0 // load D (atomic) bpm=8 vaw=1
v_accvgpr_read_b32 v[vgprValuC+12], acc76 // copy acc to vreg[82]
v_accvgpr_read_b32 v[vgprValuC+13], acc77 // copy acc to vreg[83]
s_nop 1                                            // 2 wait states required before reading vgpr

/* rC *= alpha batchElements=[(10, 0, 0, 1)] */
v_mul_f64 v[vgprValuC+12:vgprValuC+12+1], s[sgprAlpha:sgprAlpha+1], v[vgprValuC+12:vgprValuC+12+1] // *= alpha
s_waitcnt vmcnt(0)                                 // wait C (atomic)

/* issue first atomic writes */
s_mov_b64 exec, s[46:47]                           // sgprs -> exec (before atomic)
v_add_f64 v[8:9], v[10:11], v[vgprValuC+12:vgprValuC+12+1] // desired value
_buffer_atomic_cmpswap_b64 v[8:11], v6, s[sgprSrdD:sgprSrdD+3] 0 offen offset:0 glc   // attempt write
s_waitcnt vmcnt(0)                                 // wait for atomic writes

/* check success of writes, update masks */
s_mov_b64 exec, s[46:47]                           // sgprs -> exec
v_cmp_ne_u64 s[42:43], v[8:9], v[10:11]            // c read during atomic != c read during prior load
s_and_b64 s[46:47], s[42:43], s[46:47]             // inBounds & must try again

/* or masks to check for exit */
s_mov_b64 s[42:43], 0x0                            // empty mask
s_or_b64 s[42:43], s[46:47], s[42:43]              // or to add threads
s_or_saveexec_b64 s[44:45], s[42:43]               // apply combined mask
s_cbranch_execz label_0254                         // if exec is zero skip loop

/* atomic CAS loop */
label_0253:

/* apply updated masks and issue writes again */
s_mov_b64 exec, s[46:47]                           // must try again
v_mov_b32 v10, v8                                  // dataV+2 = tmp (new original C)
v_mov_b32 v11, v9                                  // dataV+3 = tmp (new original C)
v_add_f64 v[8:9], v[10:11], v[vgprValuC+12:vgprValuC+12+1] // newC = rC + originalC
_buffer_atomic_cmpswap_b64 v[8:11], v6, s[sgprSrdD:sgprSrdD+3] 0 offen offset:0 glc   // attempt write
s_waitcnt vmcnt(0)                                 // wait for atomic writes

/* apply masks and check for success */
s_mov_b64 exec, s[46:47]                           // must try again
v_cmp_ne_u64 s[42:43], v[8:9], v[10:11]            // c read during atomic != c read during prior load
s_and_b64 s[46:47], s[42:43], s[46:47]             // inBounds & must try again

/* or masks to check for exit */
s_mov_b64 s[42:43], 0x0                            // empty mask
s_or_b64 s[42:43], s[46:47], s[42:43]              // or to add threads
s_or_saveexec_b64 s[44:45], s[42:43]               // apply combined mask
s_cbranch_execnz label_0253                        // try again if not complete
label_0254:
s_mov_b64 exec, -1                                 // full mask -> exec
s_nop 0                                            // 1 wait state required when next inst writes vgprs held by previous dwordx4 store inst
/* optSingleColVgpr=0 optSharedColVgpr=0 optSGPRUsage=None optSrdIncForRow=0 */

/******************************************/
/* Global Write Alpha Edge Batch #42 (d1,d0,vc1,vc0) = */
/*    (10,1,0,0:vw1:vaw:1)                */
/******************************************/

/* calc coords, apply mask, and issue loads (if necessary) */
/* (d1,vc1,d0,vc0)=(10,0,1,0) */
_v_add_co_u32 v4, vcc, v0, 64                      // coord0.1: coord0 += d0*sg0*VW + vc0
v_cmp_lt_u32 s[42:43], v4, s[sgprSizeI]            // coord0 < size0
v_cmp_lt_u32 s[46:47], v1, s[sgprSizeJ]            // coord1 < size1
s_and_b64 s[46:47], s[42:43], s[46:47]             // in0 && in1
_v_add_lshl_u32 v6, v3, v4, 0x3                    // scaleToBpe: accumulate d0 lower and *= bpe into Cin addr
v_cndmask_b32 v6, -1, v6, s[46:47]                 // LDD clip if OOB. offset
_buffer_load_b64 v[10:11], v6, s[sgprSrdD:sgprSrdD+3], 0, offen offset:0 // load D (atomic) bpm=8 vaw=1
v_accvgpr_read_b32 v[vgprValuC+12], acc84 // copy acc to vreg[84]
v_accvgpr_read_b32 v[vgprValuC+13], acc85 // copy acc to vreg[85]
s_nop 1                                            // 2 wait states required before reading vgpr

/* rC *= alpha batchElements=[(10, 1, 0, 0)] */
v_mul_f64 v[vgprValuC+12:vgprValuC+12+1], s[sgprAlpha:sgprAlpha+1], v[vgprValuC+12:vgprValuC+12+1] // *= alpha
s_waitcnt vmcnt(0)                                 // wait C (atomic)

/* issue first atomic writes */
s_mov_b64 exec, s[46:47]                           // sgprs -> exec (before atomic)
v_add_f64 v[8:9], v[10:11], v[vgprValuC+12:vgprValuC+12+1] // desired value
_buffer_atomic_cmpswap_b64 v[8:11], v6, s[sgprSrdD:sgprSrdD+3] 0 offen offset:0 glc   // attempt write
s_waitcnt vmcnt(0)                                 // wait for atomic writes

/* check success of writes, update masks */
s_mov_b64 exec, s[46:47]                           // sgprs -> exec
v_cmp_ne_u64 s[42:43], v[8:9], v[10:11]            // c read during atomic != c read during prior load
s_and_b64 s[46:47], s[42:43], s[46:47]             // inBounds & must try again

/* or masks to check for exit */
s_mov_b64 s[42:43], 0x0                            // empty mask
s_or_b64 s[42:43], s[46:47], s[42:43]              // or to add threads
s_or_saveexec_b64 s[44:45], s[42:43]               // apply combined mask
s_cbranch_execz label_0256                         // if exec is zero skip loop

/* atomic CAS loop */
label_0255:

/* apply updated masks and issue writes again */
s_mov_b64 exec, s[46:47]                           // must try again
v_mov_b32 v10, v8                                  // dataV+2 = tmp (new original C)
v_mov_b32 v11, v9                                  // dataV+3 = tmp (new original C)
v_add_f64 v[8:9], v[10:11], v[vgprValuC+12:vgprValuC+12+1] // newC = rC + originalC
_buffer_atomic_cmpswap_b64 v[8:11], v6, s[sgprSrdD:sgprSrdD+3] 0 offen offset:0 glc   // attempt write
s_waitcnt vmcnt(0)                                 // wait for atomic writes

/* apply masks and check for success */
s_mov_b64 exec, s[46:47]                           // must try again
v_cmp_ne_u64 s[42:43], v[8:9], v[10:11]            // c read during atomic != c read during prior load
s_and_b64 s[46:47], s[42:43], s[46:47]             // inBounds & must try again

/* or masks to check for exit */
s_mov_b64 s[42:43], 0x0                            // empty mask
s_or_b64 s[42:43], s[46:47], s[42:43]              // or to add threads
s_or_saveexec_b64 s[44:45], s[42:43]               // apply combined mask
s_cbranch_execnz label_0255                        // try again if not complete
label_0256:
s_mov_b64 exec, -1                                 // full mask -> exec
s_nop 0                                            // 1 wait state required when next inst writes vgprs held by previous dwordx4 store inst
/* optSingleColVgpr=0 optSharedColVgpr=0 optSGPRUsage=None optSrdIncForRow=0 */

/******************************************/
/* Global Write Alpha Edge Batch #43 (d1,d0,vc1,vc0) = */
/*    (10,1,0,1:vw1:vaw:1)                */
/******************************************/

/* calc coords, apply mask, and issue loads (if necessary) */
/* (d1,vc1,d0,vc0)=(10,0,1,1) */
s_mov_b32 s42, 65                                  // coordOffset0 d0=1 vc0=1
_v_add_co_u32 v4, vcc, v0, s42                     // coord0.2: coord0 += d0*sg0*VW + vc0
v_cmp_lt_u32 s[42:43], v4, s[sgprSizeI]            // coord0 < size0
v_cmp_lt_u32 s[46:47], v1, s[sgprSizeJ]            // coord1 < size1
s_and_b64 s[46:47], s[42:43], s[46:47]             // in0 && in1
_v_add_lshl_u32 v6, v3, v4, 0x3                    // scaleToBpe: accumulate d0 lower and *= bpe into Cin addr
v_cndmask_b32 v6, -1, v6, s[46:47]                 // LDD clip if OOB. offset
_buffer_load_b64 v[10:11], v6, s[sgprSrdD:sgprSrdD+3], 0, offen offset:0 // load D (atomic) bpm=8 vaw=1
v_accvgpr_read_b32 v[vgprValuC+12], acc92 // copy acc to vreg[86]
v_accvgpr_read_b32 v[vgprValuC+13], acc93 // copy acc to vreg[87]
s_nop 1                                            // 2 wait states required before reading vgpr

/* rC *= alpha batchElements=[(10, 1, 0, 1)] */
v_mul_f64 v[vgprValuC+12:vgprValuC+12+1], s[sgprAlpha:sgprAlpha+1], v[vgprValuC+12:vgprValuC+12+1] // *= alpha
s_waitcnt vmcnt(0)                                 // wait C (atomic)

/* issue first atomic writes */
s_mov_b64 exec, s[46:47]                           // sgprs -> exec (before atomic)
v_add_f64 v[8:9], v[10:11], v[vgprValuC+12:vgprValuC+12+1] // desired value
_buffer_atomic_cmpswap_b64 v[8:11], v6, s[sgprSrdD:sgprSrdD+3] 0 offen offset:0 glc   // attempt write
s_waitcnt vmcnt(0)                                 // wait for atomic writes

/* check success of writes, update masks */
s_mov_b64 exec, s[46:47]                           // sgprs -> exec
v_cmp_ne_u64 s[42:43], v[8:9], v[10:11]            // c read during atomic != c read during prior load
s_and_b64 s[46:47], s[42:43], s[46:47]             // inBounds & must try again

/* or masks to check for exit */
s_mov_b64 s[42:43], 0x0                            // empty mask
s_or_b64 s[42:43], s[46:47], s[42:43]              // or to add threads
s_or_saveexec_b64 s[44:45], s[42:43]               // apply combined mask
s_cbranch_execz label_0258                         // if exec is zero skip loop

/* atomic CAS loop */
label_0257:

/* apply updated masks and issue writes again */
s_mov_b64 exec, s[46:47]                           // must try again
v_mov_b32 v10, v8                                  // dataV+2 = tmp (new original C)
v_mov_b32 v11, v9                                  // dataV+3 = tmp (new original C)
v_add_f64 v[8:9], v[10:11], v[vgprValuC+12:vgprValuC+12+1] // newC = rC + originalC
_buffer_atomic_cmpswap_b64 v[8:11], v6, s[sgprSrdD:sgprSrdD+3] 0 offen offset:0 glc   // attempt write
s_waitcnt vmcnt(0)                                 // wait for atomic writes

/* apply masks and check for success */
s_mov_b64 exec, s[46:47]                           // must try again
v_cmp_ne_u64 s[42:43], v[8:9], v[10:11]            // c read during atomic != c read during prior load
s_and_b64 s[46:47], s[42:43], s[46:47]             // inBounds & must try again

/* or masks to check for exit */
s_mov_b64 s[42:43], 0x0                            // empty mask
s_or_b64 s[42:43], s[46:47], s[42:43]              // or to add threads
s_or_saveexec_b64 s[44:45], s[42:43]               // apply combined mask
s_cbranch_execnz label_0257                        // try again if not complete
label_0258:
s_mov_b64 exec, -1                                 // full mask -> exec
s_nop 0                                            // 1 wait state required when next inst writes vgprs held by previous dwordx4 store inst
/* optSingleColVgpr=0 optSharedColVgpr=0 optSGPRUsage=None optSrdIncForRow=0 */

/******************************************/
/* Global Write Alpha Edge Batch #44 (d1,d0,vc1,vc0) = */
/*    (11,0,0,0:vw1:vaw:1)                */
/******************************************/

/* calc coords, apply mask, and issue loads (if necessary) */
/* (d1,vc1,d0,vc0)=(11,0,0,0) */
_v_add_co_u32 v1, vcc, v1, 4                       // coord1.1: coord1Vgpr += d1*sg1*VW + vc1

/* Fix for UseInitialStridesCD, emitAddressSetupCode */
s_mul_i32 s42, s[sgprStrideC1J], 4                 // scale stride
_v_add_u32 v2, v2, s42                             // ROWINC- Move cinRowPtr to next row
s_mul_i32 s42, s[sgprStrideD1J], 4                 // scale stride
_v_add_u32 v3, v3, s42                             // Move coutRowPtr to next row
v_cmp_lt_u32 s[42:43], v0, s[sgprSizeI]            // coord0 < size0
v_cmp_lt_u32 s[46:47], v1, s[sgprSizeJ]            // coord1 < size1
s_and_b64 s[46:47], s[42:43], s[46:47]             // in0 && in1
_v_add_lshl_u32 v6, v3, v0, 0x3                    // scaleToBpe: accumulate d0 lower and *= bpe into Cin addr
v_cndmask_b32 v6, -1, v6, s[46:47]                 // LDD clip if OOB. offset
_buffer_load_b64 v[10:11], v6, s[sgprSrdD:sgprSrdD+3], 0, offen offset:0 // load D (atomic) bpm=8 vaw=1
v_accvgpr_read_b32 v[vgprValuC+12], acc70 // copy acc to vreg[88]
v_accvgpr_read_b32 v[vgprValuC+13], acc71 // copy acc to vreg[89]
s_nop 1                                            // 2 wait states required before reading vgpr

/* rC *= alpha batchElements=[(11, 0, 0, 0)] */
v_mul_f64 v[vgprValuC+12:vgprValuC+12+1], s[sgprAlpha:sgprAlpha+1], v[vgprValuC+12:vgprValuC+12+1] // *= alpha
s_waitcnt vmcnt(0)                                 // wait C (atomic)

/* issue first atomic writes */
s_mov_b64 exec, s[46:47]                           // sgprs -> exec (before atomic)
v_add_f64 v[8:9], v[10:11], v[vgprValuC+12:vgprValuC+12+1] // desired value
_buffer_atomic_cmpswap_b64 v[8:11], v6, s[sgprSrdD:sgprSrdD+3] 0 offen offset:0 glc   // attempt write
s_waitcnt vmcnt(0)                                 // wait for atomic writes

/* check success of writes, update masks */
s_mov_b64 exec, s[46:47]                           // sgprs -> exec
v_cmp_ne_u64 s[42:43], v[8:9], v[10:11]            // c read during atomic != c read during prior load
s_and_b64 s[46:47], s[42:43], s[46:47]             // inBounds & must try again

/* or masks to check for exit */
s_mov_b64 s[42:43], 0x0                            // empty mask
s_or_b64 s[42:43], s[46:47], s[42:43]              // or to add threads
s_or_saveexec_b64 s[44:45], s[42:43]               // apply combined mask
s_cbranch_execz label_0260                         // if exec is zero skip loop

/* atomic CAS loop */
label_0259:

/* apply updated masks and issue writes again */
s_mov_b64 exec, s[46:47]                           // must try again
v_mov_b32 v10, v8                                  // dataV+2 = tmp (new original C)
v_mov_b32 v11, v9                                  // dataV+3 = tmp (new original C)
v_add_f64 v[8:9], v[10:11], v[vgprValuC+12:vgprValuC+12+1] // newC = rC + originalC
_buffer_atomic_cmpswap_b64 v[8:11], v6, s[sgprSrdD:sgprSrdD+3] 0 offen offset:0 glc   // attempt write
s_waitcnt vmcnt(0)                                 // wait for atomic writes

/* apply masks and check for success */
s_mov_b64 exec, s[46:47]                           // must try again
v_cmp_ne_u64 s[42:43], v[8:9], v[10:11]            // c read during atomic != c read during prior load
s_and_b64 s[46:47], s[42:43], s[46:47]             // inBounds & must try again

/* or masks to check for exit */
s_mov_b64 s[42:43], 0x0                            // empty mask
s_or_b64 s[42:43], s[46:47], s[42:43]              // or to add threads
s_or_saveexec_b64 s[44:45], s[42:43]               // apply combined mask
s_cbranch_execnz label_0259                        // try again if not complete
label_0260:
s_mov_b64 exec, -1                                 // full mask -> exec
s_nop 0                                            // 1 wait state required when next inst writes vgprs held by previous dwordx4 store inst
/* optSingleColVgpr=0 optSharedColVgpr=0 optSGPRUsage=None optSrdIncForRow=0 */

/******************************************/
/* Global Write Alpha Edge Batch #45 (d1,d0,vc1,vc0) = */
/*    (11,0,0,1:vw1:vaw:1)                */
/******************************************/

/* calc coords, apply mask, and issue loads (if necessary) */
/* (d1,vc1,d0,vc0)=(11,0,0,1) */
_v_add_co_u32 v4, vcc, v0, 1                       // coord0.1: coord0 += d0*sg0*VW + vc0
v_cmp_lt_u32 s[42:43], v4, s[sgprSizeI]            // coord0 < size0
v_cmp_lt_u32 s[46:47], v1, s[sgprSizeJ]            // coord1 < size1
s_and_b64 s[46:47], s[42:43], s[46:47]             // in0 && in1
_v_add_lshl_u32 v6, v3, v4, 0x3                    // scaleToBpe: accumulate d0 lower and *= bpe into Cin addr
v_cndmask_b32 v6, -1, v6, s[46:47]                 // LDD clip if OOB. offset
_buffer_load_b64 v[10:11], v6, s[sgprSrdD:sgprSrdD+3], 0, offen offset:0 // load D (atomic) bpm=8 vaw=1
v_accvgpr_read_b32 v[vgprValuC+12], acc78 // copy acc to vreg[90]
v_accvgpr_read_b32 v[vgprValuC+13], acc79 // copy acc to vreg[91]
s_nop 1                                            // 2 wait states required before reading vgpr

/* rC *= alpha batchElements=[(11, 0, 0, 1)] */
v_mul_f64 v[vgprValuC+12:vgprValuC+12+1], s[sgprAlpha:sgprAlpha+1], v[vgprValuC+12:vgprValuC+12+1] // *= alpha
s_waitcnt vmcnt(0)                                 // wait C (atomic)

/* issue first atomic writes */
s_mov_b64 exec, s[46:47]                           // sgprs -> exec (before atomic)
v_add_f64 v[8:9], v[10:11], v[vgprValuC+12:vgprValuC+12+1] // desired value
_buffer_atomic_cmpswap_b64 v[8:11], v6, s[sgprSrdD:sgprSrdD+3] 0 offen offset:0 glc   // attempt write
s_waitcnt vmcnt(0)                                 // wait for atomic writes

/* check success of writes, update masks */
s_mov_b64 exec, s[46:47]                           // sgprs -> exec
v_cmp_ne_u64 s[42:43], v[8:9], v[10:11]            // c read during atomic != c read during prior load
s_and_b64 s[46:47], s[42:43], s[46:47]             // inBounds & must try again

/* or masks to check for exit */
s_mov_b64 s[42:43], 0x0                            // empty mask
s_or_b64 s[42:43], s[46:47], s[42:43]              // or to add threads
s_or_saveexec_b64 s[44:45], s[42:43]               // apply combined mask
s_cbranch_execz label_0262                         // if exec is zero skip loop

/* atomic CAS loop */
label_0261:

/* apply updated masks and issue writes again */
s_mov_b64 exec, s[46:47]                           // must try again
v_mov_b32 v10, v8                                  // dataV+2 = tmp (new original C)
v_mov_b32 v11, v9                                  // dataV+3 = tmp (new original C)
v_add_f64 v[8:9], v[10:11], v[vgprValuC+12:vgprValuC+12+1] // newC = rC + originalC
_buffer_atomic_cmpswap_b64 v[8:11], v6, s[sgprSrdD:sgprSrdD+3] 0 offen offset:0 glc   // attempt write
s_waitcnt vmcnt(0)                                 // wait for atomic writes

/* apply masks and check for success */
s_mov_b64 exec, s[46:47]                           // must try again
v_cmp_ne_u64 s[42:43], v[8:9], v[10:11]            // c read during atomic != c read during prior load
s_and_b64 s[46:47], s[42:43], s[46:47]             // inBounds & must try again

/* or masks to check for exit */
s_mov_b64 s[42:43], 0x0                            // empty mask
s_or_b64 s[42:43], s[46:47], s[42:43]              // or to add threads
s_or_saveexec_b64 s[44:45], s[42:43]               // apply combined mask
s_cbranch_execnz label_0261                        // try again if not complete
label_0262:
s_mov_b64 exec, -1                                 // full mask -> exec
s_nop 0                                            // 1 wait state required when next inst writes vgprs held by previous dwordx4 store inst
/* optSingleColVgpr=0 optSharedColVgpr=0 optSGPRUsage=None optSrdIncForRow=0 */

/******************************************/
/* Global Write Alpha Edge Batch #46 (d1,d0,vc1,vc0) = */
/*    (11,1,0,0:vw1:vaw:1)                */
/******************************************/

/* calc coords, apply mask, and issue loads (if necessary) */
/* (d1,vc1,d0,vc0)=(11,0,1,0) */
_v_add_co_u32 v4, vcc, v0, 64                      // coord0.1: coord0 += d0*sg0*VW + vc0
v_cmp_lt_u32 s[42:43], v4, s[sgprSizeI]            // coord0 < size0
v_cmp_lt_u32 s[46:47], v1, s[sgprSizeJ]            // coord1 < size1
s_and_b64 s[46:47], s[42:43], s[46:47]             // in0 && in1
_v_add_lshl_u32 v6, v3, v4, 0x3                    // scaleToBpe: accumulate d0 lower and *= bpe into Cin addr
v_cndmask_b32 v6, -1, v6, s[46:47]                 // LDD clip if OOB. offset
_buffer_load_b64 v[10:11], v6, s[sgprSrdD:sgprSrdD+3], 0, offen offset:0 // load D (atomic) bpm=8 vaw=1
v_accvgpr_read_b32 v[vgprValuC+12], acc86 // copy acc to vreg[92]
v_accvgpr_read_b32 v[vgprValuC+13], acc87 // copy acc to vreg[93]
s_nop 1                                            // 2 wait states required before reading vgpr

/* rC *= alpha batchElements=[(11, 1, 0, 0)] */
v_mul_f64 v[vgprValuC+12:vgprValuC+12+1], s[sgprAlpha:sgprAlpha+1], v[vgprValuC+12:vgprValuC+12+1] // *= alpha
s_waitcnt vmcnt(0)                                 // wait C (atomic)

/* issue first atomic writes */
s_mov_b64 exec, s[46:47]                           // sgprs -> exec (before atomic)
v_add_f64 v[8:9], v[10:11], v[vgprValuC+12:vgprValuC+12+1] // desired value
_buffer_atomic_cmpswap_b64 v[8:11], v6, s[sgprSrdD:sgprSrdD+3] 0 offen offset:0 glc   // attempt write
s_waitcnt vmcnt(0)                                 // wait for atomic writes

/* check success of writes, update masks */
s_mov_b64 exec, s[46:47]                           // sgprs -> exec
v_cmp_ne_u64 s[42:43], v[8:9], v[10:11]            // c read during atomic != c read during prior load
s_and_b64 s[46:47], s[42:43], s[46:47]             // inBounds & must try again

/* or masks to check for exit */
s_mov_b64 s[42:43], 0x0                            // empty mask
s_or_b64 s[42:43], s[46:47], s[42:43]              // or to add threads
s_or_saveexec_b64 s[44:45], s[42:43]               // apply combined mask
s_cbranch_execz label_0264                         // if exec is zero skip loop

/* atomic CAS loop */
label_0263:

/* apply updated masks and issue writes again */
s_mov_b64 exec, s[46:47]                           // must try again
v_mov_b32 v10, v8                                  // dataV+2 = tmp (new original C)
v_mov_b32 v11, v9                                  // dataV+3 = tmp (new original C)
v_add_f64 v[8:9], v[10:11], v[vgprValuC+12:vgprValuC+12+1] // newC = rC + originalC
_buffer_atomic_cmpswap_b64 v[8:11], v6, s[sgprSrdD:sgprSrdD+3] 0 offen offset:0 glc   // attempt write
s_waitcnt vmcnt(0)                                 // wait for atomic writes

/* apply masks and check for success */
s_mov_b64 exec, s[46:47]                           // must try again
v_cmp_ne_u64 s[42:43], v[8:9], v[10:11]            // c read during atomic != c read during prior load
s_and_b64 s[46:47], s[42:43], s[46:47]             // inBounds & must try again

/* or masks to check for exit */
s_mov_b64 s[42:43], 0x0                            // empty mask
s_or_b64 s[42:43], s[46:47], s[42:43]              // or to add threads
s_or_saveexec_b64 s[44:45], s[42:43]               // apply combined mask
s_cbranch_execnz label_0263                        // try again if not complete
label_0264:
s_mov_b64 exec, -1                                 // full mask -> exec
s_nop 0                                            // 1 wait state required when next inst writes vgprs held by previous dwordx4 store inst
/* optSingleColVgpr=0 optSharedColVgpr=0 optSGPRUsage=None optSrdIncForRow=0 */

/******************************************/
/* Global Write Alpha Edge Batch #47 (d1,d0,vc1,vc0) = */
/*    (11,1,0,1:vw1:vaw:1)                */
/******************************************/

/* calc coords, apply mask, and issue loads (if necessary) */
/* (d1,vc1,d0,vc0)=(11,0,1,1) */
s_mov_b32 s42, 65                                  // coordOffset0 d0=1 vc0=1
_v_add_co_u32 v4, vcc, v0, s42                     // coord0.2: coord0 += d0*sg0*VW + vc0
v_cmp_lt_u32 s[42:43], v4, s[sgprSizeI]            // coord0 < size0
v_cmp_lt_u32 s[46:47], v1, s[sgprSizeJ]            // coord1 < size1
s_and_b64 s[46:47], s[42:43], s[46:47]             // in0 && in1
_v_add_lshl_u32 v6, v3, v4, 0x3                    // scaleToBpe: accumulate d0 lower and *= bpe into Cin addr
v_cndmask_b32 v6, -1, v6, s[46:47]                 // LDD clip if OOB. offset
_buffer_load_b64 v[10:11], v6, s[sgprSrdD:sgprSrdD+3], 0, offen offset:0 // load D (atomic) bpm=8 vaw=1
v_accvgpr_read_b32 v[vgprValuC+12], acc94 // copy acc to vreg[94]
v_accvgpr_read_b32 v[vgprValuC+13], acc95 // copy acc to vreg[95]
s_nop 1                                            // 2 wait states required before reading vgpr

/* rC *= alpha batchElements=[(11, 1, 0, 1)] */
v_mul_f64 v[vgprValuC+12:vgprValuC+12+1], s[sgprAlpha:sgprAlpha+1], v[vgprValuC+12:vgprValuC+12+1] // *= alpha
s_waitcnt vmcnt(0)                                 // wait C (atomic)

/* issue first atomic writes */
s_mov_b64 exec, s[46:47]                           // sgprs -> exec (before atomic)
v_add_f64 v[8:9], v[10:11], v[vgprValuC+12:vgprValuC+12+1] // desired value
_buffer_atomic_cmpswap_b64 v[8:11], v6, s[sgprSrdD:sgprSrdD+3] 0 offen offset:0 glc   // attempt write
s_waitcnt vmcnt(0)                                 // wait for atomic writes

/* check success of writes, update masks */
s_mov_b64 exec, s[46:47]                           // sgprs -> exec
v_cmp_ne_u64 s[42:43], v[8:9], v[10:11]            // c read during atomic != c read during prior load
s_and_b64 s[46:47], s[42:43], s[46:47]             // inBounds & must try again

/* or masks to check for exit */
s_mov_b64 s[42:43], 0x0                            // empty mask
s_or_b64 s[42:43], s[46:47], s[42:43]              // or to add threads
s_or_saveexec_b64 s[44:45], s[42:43]               // apply combined mask
s_cbranch_execz label_0266                         // if exec is zero skip loop

/* atomic CAS loop */
label_0265:

/* apply updated masks and issue writes again */
s_mov_b64 exec, s[46:47]                           // must try again
v_mov_b32 v10, v8                                  // dataV+2 = tmp (new original C)
v_mov_b32 v11, v9                                  // dataV+3 = tmp (new original C)
v_add_f64 v[8:9], v[10:11], v[vgprValuC+12:vgprValuC+12+1] // newC = rC + originalC
_buffer_atomic_cmpswap_b64 v[8:11], v6, s[sgprSrdD:sgprSrdD+3] 0 offen offset:0 glc   // attempt write
s_waitcnt vmcnt(0)                                 // wait for atomic writes

/* apply masks and check for success */
s_mov_b64 exec, s[46:47]                           // must try again
v_cmp_ne_u64 s[42:43], v[8:9], v[10:11]            // c read during atomic != c read during prior load
s_and_b64 s[46:47], s[42:43], s[46:47]             // inBounds & must try again

/* or masks to check for exit */
s_mov_b64 s[42:43], 0x0                            // empty mask
s_or_b64 s[42:43], s[46:47], s[42:43]              // or to add threads
s_or_saveexec_b64 s[44:45], s[42:43]               // apply combined mask
s_cbranch_execnz label_0265                        // try again if not complete
label_0266:
s_mov_b64 exec, -1                                 // full mask -> exec
s_nop 0                                            // 1 wait state required when next inst writes vgprs held by previous dwordx4 store inst
/* optSingleColVgpr=0 optSharedColVgpr=0 optSGPRUsage=None optSrdIncForRow=0 */

/******************************************/
/* Global Write Alpha Edge Batch #48 (d1,d0,vc1,vc0) = */
/*    (12,0,0,0:vw1:vaw:1)                */
/******************************************/

/* calc coords, apply mask, and issue loads (if necessary) */
/* (d1,vc1,d0,vc0)=(12,0,0,0) */
_v_add_co_u32 v1, vcc, v1, 20                      // coord1.1: coord1Vgpr += d1*sg1*VW + vc1

/* Fix for UseInitialStridesCD, emitAddressSetupCode */
s_mul_i32 s42, s[sgprStrideC1J], 20                // scale stride
_v_add_u32 v2, v2, s42                             // ROWINC- Move cinRowPtr to next row
s_mul_i32 s42, s[sgprStrideD1J], 20                // scale stride
_v_add_u32 v3, v3, s42                             // Move coutRowPtr to next row
v_cmp_lt_u32 s[42:43], v0, s[sgprSizeI]            // coord0 < size0
v_cmp_lt_u32 s[46:47], v1, s[sgprSizeJ]            // coord1 < size1
s_and_b64 s[46:47], s[42:43], s[46:47]             // in0 && in1
_v_add_lshl_u32 v6, v3, v0, 0x3                    // scaleToBpe: accumulate d0 lower and *= bpe into Cin addr
v_cndmask_b32 v6, -1, v6, s[46:47]                 // LDD clip if OOB. offset
_buffer_load_b64 v[10:11], v6, s[sgprSrdD:sgprSrdD+3], 0, offen offset:0 // load D (atomic) bpm=8 vaw=1
v_accvgpr_read_b32 v[vgprValuC+12], acc96 // copy acc to vreg[96]
v_accvgpr_read_b32 v[vgprValuC+13], acc97 // copy acc to vreg[97]
s_nop 1                                            // 2 wait states required before reading vgpr

/* rC *= alpha batchElements=[(12, 0, 0, 0)] */
v_mul_f64 v[vgprValuC+12:vgprValuC+12+1], s[sgprAlpha:sgprAlpha+1], v[vgprValuC+12:vgprValuC+12+1] // *= alpha
s_waitcnt vmcnt(0)                                 // wait C (atomic)

/* issue first atomic writes */
s_mov_b64 exec, s[46:47]                           // sgprs -> exec (before atomic)
v_add_f64 v[8:9], v[10:11], v[vgprValuC+12:vgprValuC+12+1] // desired value
_buffer_atomic_cmpswap_b64 v[8:11], v6, s[sgprSrdD:sgprSrdD+3] 0 offen offset:0 glc   // attempt write
s_waitcnt vmcnt(0)                                 // wait for atomic writes

/* check success of writes, update masks */
s_mov_b64 exec, s[46:47]                           // sgprs -> exec
v_cmp_ne_u64 s[42:43], v[8:9], v[10:11]            // c read during atomic != c read during prior load
s_and_b64 s[46:47], s[42:43], s[46:47]             // inBounds & must try again

/* or masks to check for exit */
s_mov_b64 s[42:43], 0x0                            // empty mask
s_or_b64 s[42:43], s[46:47], s[42:43]              // or to add threads
s_or_saveexec_b64 s[44:45], s[42:43]               // apply combined mask
s_cbranch_execz label_0268                         // if exec is zero skip loop

/* atomic CAS loop */
label_0267:

/* apply updated masks and issue writes again */
s_mov_b64 exec, s[46:47]                           // must try again
v_mov_b32 v10, v8                                  // dataV+2 = tmp (new original C)
v_mov_b32 v11, v9                                  // dataV+3 = tmp (new original C)
v_add_f64 v[8:9], v[10:11], v[vgprValuC+12:vgprValuC+12+1] // newC = rC + originalC
_buffer_atomic_cmpswap_b64 v[8:11], v6, s[sgprSrdD:sgprSrdD+3] 0 offen offset:0 glc   // attempt write
s_waitcnt vmcnt(0)                                 // wait for atomic writes

/* apply masks and check for success */
s_mov_b64 exec, s[46:47]                           // must try again
v_cmp_ne_u64 s[42:43], v[8:9], v[10:11]            // c read during atomic != c read during prior load
s_and_b64 s[46:47], s[42:43], s[46:47]             // inBounds & must try again

/* or masks to check for exit */
s_mov_b64 s[42:43], 0x0                            // empty mask
s_or_b64 s[42:43], s[46:47], s[42:43]              // or to add threads
s_or_saveexec_b64 s[44:45], s[42:43]               // apply combined mask
s_cbranch_execnz label_0267                        // try again if not complete
label_0268:
s_mov_b64 exec, -1                                 // full mask -> exec
s_nop 0                                            // 1 wait state required when next inst writes vgprs held by previous dwordx4 store inst
/* optSingleColVgpr=0 optSharedColVgpr=0 optSGPRUsage=None optSrdIncForRow=0 */

/******************************************/
/* Global Write Alpha Edge Batch #49 (d1,d0,vc1,vc0) = */
/*    (12,0,0,1:vw1:vaw:1)                */
/******************************************/

/* calc coords, apply mask, and issue loads (if necessary) */
/* (d1,vc1,d0,vc0)=(12,0,0,1) */
_v_add_co_u32 v4, vcc, v0, 1                       // coord0.1: coord0 += d0*sg0*VW + vc0
v_cmp_lt_u32 s[42:43], v4, s[sgprSizeI]            // coord0 < size0
v_cmp_lt_u32 s[46:47], v1, s[sgprSizeJ]            // coord1 < size1
s_and_b64 s[46:47], s[42:43], s[46:47]             // in0 && in1
_v_add_lshl_u32 v6, v3, v4, 0x3                    // scaleToBpe: accumulate d0 lower and *= bpe into Cin addr
v_cndmask_b32 v6, -1, v6, s[46:47]                 // LDD clip if OOB. offset
_buffer_load_b64 v[10:11], v6, s[sgprSrdD:sgprSrdD+3], 0, offen offset:0 // load D (atomic) bpm=8 vaw=1
v_accvgpr_read_b32 v[vgprValuC+12], acc104 // copy acc to vreg[98]
v_accvgpr_read_b32 v[vgprValuC+13], acc105 // copy acc to vreg[99]
s_nop 1                                            // 2 wait states required before reading vgpr

/* rC *= alpha batchElements=[(12, 0, 0, 1)] */
v_mul_f64 v[vgprValuC+12:vgprValuC+12+1], s[sgprAlpha:sgprAlpha+1], v[vgprValuC+12:vgprValuC+12+1] // *= alpha
s_waitcnt vmcnt(0)                                 // wait C (atomic)

/* issue first atomic writes */
s_mov_b64 exec, s[46:47]                           // sgprs -> exec (before atomic)
v_add_f64 v[8:9], v[10:11], v[vgprValuC+12:vgprValuC+12+1] // desired value
_buffer_atomic_cmpswap_b64 v[8:11], v6, s[sgprSrdD:sgprSrdD+3] 0 offen offset:0 glc   // attempt write
s_waitcnt vmcnt(0)                                 // wait for atomic writes

/* check success of writes, update masks */
s_mov_b64 exec, s[46:47]                           // sgprs -> exec
v_cmp_ne_u64 s[42:43], v[8:9], v[10:11]            // c read during atomic != c read during prior load
s_and_b64 s[46:47], s[42:43], s[46:47]             // inBounds & must try again

/* or masks to check for exit */
s_mov_b64 s[42:43], 0x0                            // empty mask
s_or_b64 s[42:43], s[46:47], s[42:43]              // or to add threads
s_or_saveexec_b64 s[44:45], s[42:43]               // apply combined mask
s_cbranch_execz label_0270                         // if exec is zero skip loop

/* atomic CAS loop */
label_0269:

/* apply updated masks and issue writes again */
s_mov_b64 exec, s[46:47]                           // must try again
v_mov_b32 v10, v8                                  // dataV+2 = tmp (new original C)
v_mov_b32 v11, v9                                  // dataV+3 = tmp (new original C)
v_add_f64 v[8:9], v[10:11], v[vgprValuC+12:vgprValuC+12+1] // newC = rC + originalC
_buffer_atomic_cmpswap_b64 v[8:11], v6, s[sgprSrdD:sgprSrdD+3] 0 offen offset:0 glc   // attempt write
s_waitcnt vmcnt(0)                                 // wait for atomic writes

/* apply masks and check for success */
s_mov_b64 exec, s[46:47]                           // must try again
v_cmp_ne_u64 s[42:43], v[8:9], v[10:11]            // c read during atomic != c read during prior load
s_and_b64 s[46:47], s[42:43], s[46:47]             // inBounds & must try again

/* or masks to check for exit */
s_mov_b64 s[42:43], 0x0                            // empty mask
s_or_b64 s[42:43], s[46:47], s[42:43]              // or to add threads
s_or_saveexec_b64 s[44:45], s[42:43]               // apply combined mask
s_cbranch_execnz label_0269                        // try again if not complete
label_0270:
s_mov_b64 exec, -1                                 // full mask -> exec
s_nop 0                                            // 1 wait state required when next inst writes vgprs held by previous dwordx4 store inst
/* optSingleColVgpr=0 optSharedColVgpr=0 optSGPRUsage=None optSrdIncForRow=0 */

/******************************************/
/* Global Write Alpha Edge Batch #50 (d1,d0,vc1,vc0) = */
/*    (12,1,0,0:vw1:vaw:1)                */
/******************************************/

/* calc coords, apply mask, and issue loads (if necessary) */
/* (d1,vc1,d0,vc0)=(12,0,1,0) */
_v_add_co_u32 v4, vcc, v0, 64                      // coord0.1: coord0 += d0*sg0*VW + vc0
v_cmp_lt_u32 s[42:43], v4, s[sgprSizeI]            // coord0 < size0
v_cmp_lt_u32 s[46:47], v1, s[sgprSizeJ]            // coord1 < size1
s_and_b64 s[46:47], s[42:43], s[46:47]             // in0 && in1
_v_add_lshl_u32 v6, v3, v4, 0x3                    // scaleToBpe: accumulate d0 lower and *= bpe into Cin addr
v_cndmask_b32 v6, -1, v6, s[46:47]                 // LDD clip if OOB. offset
_buffer_load_b64 v[10:11], v6, s[sgprSrdD:sgprSrdD+3], 0, offen offset:0 // load D (atomic) bpm=8 vaw=1
v_accvgpr_read_b32 v[vgprValuC+12], acc112 // copy acc to vreg[100]
v_accvgpr_read_b32 v[vgprValuC+13], acc113 // copy acc to vreg[101]
s_nop 1                                            // 2 wait states required before reading vgpr

/* rC *= alpha batchElements=[(12, 1, 0, 0)] */
v_mul_f64 v[vgprValuC+12:vgprValuC+12+1], s[sgprAlpha:sgprAlpha+1], v[vgprValuC+12:vgprValuC+12+1] // *= alpha
s_waitcnt vmcnt(0)                                 // wait C (atomic)

/* issue first atomic writes */
s_mov_b64 exec, s[46:47]                           // sgprs -> exec (before atomic)
v_add_f64 v[8:9], v[10:11], v[vgprValuC+12:vgprValuC+12+1] // desired value
_buffer_atomic_cmpswap_b64 v[8:11], v6, s[sgprSrdD:sgprSrdD+3] 0 offen offset:0 glc   // attempt write
s_waitcnt vmcnt(0)                                 // wait for atomic writes

/* check success of writes, update masks */
s_mov_b64 exec, s[46:47]                           // sgprs -> exec
v_cmp_ne_u64 s[42:43], v[8:9], v[10:11]            // c read during atomic != c read during prior load
s_and_b64 s[46:47], s[42:43], s[46:47]             // inBounds & must try again

/* or masks to check for exit */
s_mov_b64 s[42:43], 0x0                            // empty mask
s_or_b64 s[42:43], s[46:47], s[42:43]              // or to add threads
s_or_saveexec_b64 s[44:45], s[42:43]               // apply combined mask
s_cbranch_execz label_0272                         // if exec is zero skip loop

/* atomic CAS loop */
label_0271:

/* apply updated masks and issue writes again */
s_mov_b64 exec, s[46:47]                           // must try again
v_mov_b32 v10, v8                                  // dataV+2 = tmp (new original C)
v_mov_b32 v11, v9                                  // dataV+3 = tmp (new original C)
v_add_f64 v[8:9], v[10:11], v[vgprValuC+12:vgprValuC+12+1] // newC = rC + originalC
_buffer_atomic_cmpswap_b64 v[8:11], v6, s[sgprSrdD:sgprSrdD+3] 0 offen offset:0 glc   // attempt write
s_waitcnt vmcnt(0)                                 // wait for atomic writes

/* apply masks and check for success */
s_mov_b64 exec, s[46:47]                           // must try again
v_cmp_ne_u64 s[42:43], v[8:9], v[10:11]            // c read during atomic != c read during prior load
s_and_b64 s[46:47], s[42:43], s[46:47]             // inBounds & must try again

/* or masks to check for exit */
s_mov_b64 s[42:43], 0x0                            // empty mask
s_or_b64 s[42:43], s[46:47], s[42:43]              // or to add threads
s_or_saveexec_b64 s[44:45], s[42:43]               // apply combined mask
s_cbranch_execnz label_0271                        // try again if not complete
label_0272:
s_mov_b64 exec, -1                                 // full mask -> exec
s_nop 0                                            // 1 wait state required when next inst writes vgprs held by previous dwordx4 store inst
/* optSingleColVgpr=0 optSharedColVgpr=0 optSGPRUsage=None optSrdIncForRow=0 */

/******************************************/
/* Global Write Alpha Edge Batch #51 (d1,d0,vc1,vc0) = */
/*    (12,1,0,1:vw1:vaw:1)                */
/******************************************/

/* calc coords, apply mask, and issue loads (if necessary) */
/* (d1,vc1,d0,vc0)=(12,0,1,1) */
s_mov_b32 s42, 65                                  // coordOffset0 d0=1 vc0=1
_v_add_co_u32 v4, vcc, v0, s42                     // coord0.2: coord0 += d0*sg0*VW + vc0
v_cmp_lt_u32 s[42:43], v4, s[sgprSizeI]            // coord0 < size0
v_cmp_lt_u32 s[46:47], v1, s[sgprSizeJ]            // coord1 < size1
s_and_b64 s[46:47], s[42:43], s[46:47]             // in0 && in1
_v_add_lshl_u32 v6, v3, v4, 0x3                    // scaleToBpe: accumulate d0 lower and *= bpe into Cin addr
v_cndmask_b32 v6, -1, v6, s[46:47]                 // LDD clip if OOB. offset
_buffer_load_b64 v[10:11], v6, s[sgprSrdD:sgprSrdD+3], 0, offen offset:0 // load D (atomic) bpm=8 vaw=1
v_accvgpr_read_b32 v[vgprValuC+12], acc120 // copy acc to vreg[102]
v_accvgpr_read_b32 v[vgprValuC+13], acc121 // copy acc to vreg[103]
s_nop 1                                            // 2 wait states required before reading vgpr

/* rC *= alpha batchElements=[(12, 1, 0, 1)] */
v_mul_f64 v[vgprValuC+12:vgprValuC+12+1], s[sgprAlpha:sgprAlpha+1], v[vgprValuC+12:vgprValuC+12+1] // *= alpha
s_waitcnt vmcnt(0)                                 // wait C (atomic)

/* issue first atomic writes */
s_mov_b64 exec, s[46:47]                           // sgprs -> exec (before atomic)
v_add_f64 v[8:9], v[10:11], v[vgprValuC+12:vgprValuC+12+1] // desired value
_buffer_atomic_cmpswap_b64 v[8:11], v6, s[sgprSrdD:sgprSrdD+3] 0 offen offset:0 glc   // attempt write
s_waitcnt vmcnt(0)                                 // wait for atomic writes

/* check success of writes, update masks */
s_mov_b64 exec, s[46:47]                           // sgprs -> exec
v_cmp_ne_u64 s[42:43], v[8:9], v[10:11]            // c read during atomic != c read during prior load
s_and_b64 s[46:47], s[42:43], s[46:47]             // inBounds & must try again

/* or masks to check for exit */
s_mov_b64 s[42:43], 0x0                            // empty mask
s_or_b64 s[42:43], s[46:47], s[42:43]              // or to add threads
s_or_saveexec_b64 s[44:45], s[42:43]               // apply combined mask
s_cbranch_execz label_0274                         // if exec is zero skip loop

/* atomic CAS loop */
label_0273:

/* apply updated masks and issue writes again */
s_mov_b64 exec, s[46:47]                           // must try again
v_mov_b32 v10, v8                                  // dataV+2 = tmp (new original C)
v_mov_b32 v11, v9                                  // dataV+3 = tmp (new original C)
v_add_f64 v[8:9], v[10:11], v[vgprValuC+12:vgprValuC+12+1] // newC = rC + originalC
_buffer_atomic_cmpswap_b64 v[8:11], v6, s[sgprSrdD:sgprSrdD+3] 0 offen offset:0 glc   // attempt write
s_waitcnt vmcnt(0)                                 // wait for atomic writes

/* apply masks and check for success */
s_mov_b64 exec, s[46:47]                           // must try again
v_cmp_ne_u64 s[42:43], v[8:9], v[10:11]            // c read during atomic != c read during prior load
s_and_b64 s[46:47], s[42:43], s[46:47]             // inBounds & must try again

/* or masks to check for exit */
s_mov_b64 s[42:43], 0x0                            // empty mask
s_or_b64 s[42:43], s[46:47], s[42:43]              // or to add threads
s_or_saveexec_b64 s[44:45], s[42:43]               // apply combined mask
s_cbranch_execnz label_0273                        // try again if not complete
label_0274:
s_mov_b64 exec, -1                                 // full mask -> exec
s_nop 0                                            // 1 wait state required when next inst writes vgprs held by previous dwordx4 store inst
/* optSingleColVgpr=0 optSharedColVgpr=0 optSGPRUsage=None optSrdIncForRow=0 */

/******************************************/
/* Global Write Alpha Edge Batch #52 (d1,d0,vc1,vc0) = */
/*    (13,0,0,0:vw1:vaw:1)                */
/******************************************/

/* calc coords, apply mask, and issue loads (if necessary) */
/* (d1,vc1,d0,vc0)=(13,0,0,0) */
_v_add_co_u32 v1, vcc, v1, 4                       // coord1.1: coord1Vgpr += d1*sg1*VW + vc1

/* Fix for UseInitialStridesCD, emitAddressSetupCode */
s_mul_i32 s42, s[sgprStrideC1J], 4                 // scale stride
_v_add_u32 v2, v2, s42                             // ROWINC- Move cinRowPtr to next row
s_mul_i32 s42, s[sgprStrideD1J], 4                 // scale stride
_v_add_u32 v3, v3, s42                             // Move coutRowPtr to next row
v_cmp_lt_u32 s[42:43], v0, s[sgprSizeI]            // coord0 < size0
v_cmp_lt_u32 s[46:47], v1, s[sgprSizeJ]            // coord1 < size1
s_and_b64 s[46:47], s[42:43], s[46:47]             // in0 && in1
_v_add_lshl_u32 v6, v3, v0, 0x3                    // scaleToBpe: accumulate d0 lower and *= bpe into Cin addr
v_cndmask_b32 v6, -1, v6, s[46:47]                 // LDD clip if OOB. offset
_buffer_load_b64 v[10:11], v6, s[sgprSrdD:sgprSrdD+3], 0, offen offset:0 // load D (atomic) bpm=8 vaw=1
v_accvgpr_read_b32 v[vgprValuC+12], acc98 // copy acc to vreg[104]
v_accvgpr_read_b32 v[vgprValuC+13], acc99 // copy acc to vreg[105]
s_nop 1                                            // 2 wait states required before reading vgpr

/* rC *= alpha batchElements=[(13, 0, 0, 0)] */
v_mul_f64 v[vgprValuC+12:vgprValuC+12+1], s[sgprAlpha:sgprAlpha+1], v[vgprValuC+12:vgprValuC+12+1] // *= alpha
s_waitcnt vmcnt(0)                                 // wait C (atomic)

/* issue first atomic writes */
s_mov_b64 exec, s[46:47]                           // sgprs -> exec (before atomic)
v_add_f64 v[8:9], v[10:11], v[vgprValuC+12:vgprValuC+12+1] // desired value
_buffer_atomic_cmpswap_b64 v[8:11], v6, s[sgprSrdD:sgprSrdD+3] 0 offen offset:0 glc   // attempt write
s_waitcnt vmcnt(0)                                 // wait for atomic writes

/* check success of writes, update masks */
s_mov_b64 exec, s[46:47]                           // sgprs -> exec
v_cmp_ne_u64 s[42:43], v[8:9], v[10:11]            // c read during atomic != c read during prior load
s_and_b64 s[46:47], s[42:43], s[46:47]             // inBounds & must try again

/* or masks to check for exit */
s_mov_b64 s[42:43], 0x0                            // empty mask
s_or_b64 s[42:43], s[46:47], s[42:43]              // or to add threads
s_or_saveexec_b64 s[44:45], s[42:43]               // apply combined mask
s_cbranch_execz label_0276                         // if exec is zero skip loop

/* atomic CAS loop */
label_0275:

/* apply updated masks and issue writes again */
s_mov_b64 exec, s[46:47]                           // must try again
v_mov_b32 v10, v8                                  // dataV+2 = tmp (new original C)
v_mov_b32 v11, v9                                  // dataV+3 = tmp (new original C)
v_add_f64 v[8:9], v[10:11], v[vgprValuC+12:vgprValuC+12+1] // newC = rC + originalC
_buffer_atomic_cmpswap_b64 v[8:11], v6, s[sgprSrdD:sgprSrdD+3] 0 offen offset:0 glc   // attempt write
s_waitcnt vmcnt(0)                                 // wait for atomic writes

/* apply masks and check for success */
s_mov_b64 exec, s[46:47]                           // must try again
v_cmp_ne_u64 s[42:43], v[8:9], v[10:11]            // c read during atomic != c read during prior load
s_and_b64 s[46:47], s[42:43], s[46:47]             // inBounds & must try again

/* or masks to check for exit */
s_mov_b64 s[42:43], 0x0                            // empty mask
s_or_b64 s[42:43], s[46:47], s[42:43]              // or to add threads
s_or_saveexec_b64 s[44:45], s[42:43]               // apply combined mask
s_cbranch_execnz label_0275                        // try again if not complete
label_0276:
s_mov_b64 exec, -1                                 // full mask -> exec
s_nop 0                                            // 1 wait state required when next inst writes vgprs held by previous dwordx4 store inst
/* optSingleColVgpr=0 optSharedColVgpr=0 optSGPRUsage=None optSrdIncForRow=0 */

/******************************************/
/* Global Write Alpha Edge Batch #53 (d1,d0,vc1,vc0) = */
/*    (13,0,0,1:vw1:vaw:1)                */
/******************************************/

/* calc coords, apply mask, and issue loads (if necessary) */
/* (d1,vc1,d0,vc0)=(13,0,0,1) */
_v_add_co_u32 v4, vcc, v0, 1                       // coord0.1: coord0 += d0*sg0*VW + vc0
v_cmp_lt_u32 s[42:43], v4, s[sgprSizeI]            // coord0 < size0
v_cmp_lt_u32 s[46:47], v1, s[sgprSizeJ]            // coord1 < size1
s_and_b64 s[46:47], s[42:43], s[46:47]             // in0 && in1
_v_add_lshl_u32 v6, v3, v4, 0x3                    // scaleToBpe: accumulate d0 lower and *= bpe into Cin addr
v_cndmask_b32 v6, -1, v6, s[46:47]                 // LDD clip if OOB. offset
_buffer_load_b64 v[10:11], v6, s[sgprSrdD:sgprSrdD+3], 0, offen offset:0 // load D (atomic) bpm=8 vaw=1
v_accvgpr_read_b32 v[vgprValuC+12], acc106 // copy acc to vreg[106]
v_accvgpr_read_b32 v[vgprValuC+13], acc107 // copy acc to vreg[107]
s_nop 1                                            // 2 wait states required before reading vgpr

/* rC *= alpha batchElements=[(13, 0, 0, 1)] */
v_mul_f64 v[vgprValuC+12:vgprValuC+12+1], s[sgprAlpha:sgprAlpha+1], v[vgprValuC+12:vgprValuC+12+1] // *= alpha
s_waitcnt vmcnt(0)                                 // wait C (atomic)

/* issue first atomic writes */
s_mov_b64 exec, s[46:47]                           // sgprs -> exec (before atomic)
v_add_f64 v[8:9], v[10:11], v[vgprValuC+12:vgprValuC+12+1] // desired value
_buffer_atomic_cmpswap_b64 v[8:11], v6, s[sgprSrdD:sgprSrdD+3] 0 offen offset:0 glc   // attempt write
s_waitcnt vmcnt(0)                                 // wait for atomic writes

/* check success of writes, update masks */
s_mov_b64 exec, s[46:47]                           // sgprs -> exec
v_cmp_ne_u64 s[42:43], v[8:9], v[10:11]            // c read during atomic != c read during prior load
s_and_b64 s[46:47], s[42:43], s[46:47]             // inBounds & must try again

/* or masks to check for exit */
s_mov_b64 s[42:43], 0x0                            // empty mask
s_or_b64 s[42:43], s[46:47], s[42:43]              // or to add threads
s_or_saveexec_b64 s[44:45], s[42:43]               // apply combined mask
s_cbranch_execz label_0278                         // if exec is zero skip loop

/* atomic CAS loop */
label_0277:

/* apply updated masks and issue writes again */
s_mov_b64 exec, s[46:47]                           // must try again
v_mov_b32 v10, v8                                  // dataV+2 = tmp (new original C)
v_mov_b32 v11, v9                                  // dataV+3 = tmp (new original C)
v_add_f64 v[8:9], v[10:11], v[vgprValuC+12:vgprValuC+12+1] // newC = rC + originalC
_buffer_atomic_cmpswap_b64 v[8:11], v6, s[sgprSrdD:sgprSrdD+3] 0 offen offset:0 glc   // attempt write
s_waitcnt vmcnt(0)                                 // wait for atomic writes

/* apply masks and check for success */
s_mov_b64 exec, s[46:47]                           // must try again
v_cmp_ne_u64 s[42:43], v[8:9], v[10:11]            // c read during atomic != c read during prior load
s_and_b64 s[46:47], s[42:43], s[46:47]             // inBounds & must try again

/* or masks to check for exit */
s_mov_b64 s[42:43], 0x0                            // empty mask
s_or_b64 s[42:43], s[46:47], s[42:43]              // or to add threads
s_or_saveexec_b64 s[44:45], s[42:43]               // apply combined mask
s_cbranch_execnz label_0277                        // try again if not complete
label_0278:
s_mov_b64 exec, -1                                 // full mask -> exec
s_nop 0                                            // 1 wait state required when next inst writes vgprs held by previous dwordx4 store inst
/* optSingleColVgpr=0 optSharedColVgpr=0 optSGPRUsage=None optSrdIncForRow=0 */

/******************************************/
/* Global Write Alpha Edge Batch #54 (d1,d0,vc1,vc0) = */
/*    (13,1,0,0:vw1:vaw:1)                */
/******************************************/

/* calc coords, apply mask, and issue loads (if necessary) */
/* (d1,vc1,d0,vc0)=(13,0,1,0) */
_v_add_co_u32 v4, vcc, v0, 64                      // coord0.1: coord0 += d0*sg0*VW + vc0
v_cmp_lt_u32 s[42:43], v4, s[sgprSizeI]            // coord0 < size0
v_cmp_lt_u32 s[46:47], v1, s[sgprSizeJ]            // coord1 < size1
s_and_b64 s[46:47], s[42:43], s[46:47]             // in0 && in1
_v_add_lshl_u32 v6, v3, v4, 0x3                    // scaleToBpe: accumulate d0 lower and *= bpe into Cin addr
v_cndmask_b32 v6, -1, v6, s[46:47]                 // LDD clip if OOB. offset
_buffer_load_b64 v[10:11], v6, s[sgprSrdD:sgprSrdD+3], 0, offen offset:0 // load D (atomic) bpm=8 vaw=1
v_accvgpr_read_b32 v[vgprValuC+12], acc114 // copy acc to vreg[108]
v_accvgpr_read_b32 v[vgprValuC+13], acc115 // copy acc to vreg[109]
s_nop 1                                            // 2 wait states required before reading vgpr

/* rC *= alpha batchElements=[(13, 1, 0, 0)] */
v_mul_f64 v[vgprValuC+12:vgprValuC+12+1], s[sgprAlpha:sgprAlpha+1], v[vgprValuC+12:vgprValuC+12+1] // *= alpha
s_waitcnt vmcnt(0)                                 // wait C (atomic)

/* issue first atomic writes */
s_mov_b64 exec, s[46:47]                           // sgprs -> exec (before atomic)
v_add_f64 v[8:9], v[10:11], v[vgprValuC+12:vgprValuC+12+1] // desired value
_buffer_atomic_cmpswap_b64 v[8:11], v6, s[sgprSrdD:sgprSrdD+3] 0 offen offset:0 glc   // attempt write
s_waitcnt vmcnt(0)                                 // wait for atomic writes

/* check success of writes, update masks */
s_mov_b64 exec, s[46:47]                           // sgprs -> exec
v_cmp_ne_u64 s[42:43], v[8:9], v[10:11]            // c read during atomic != c read during prior load
s_and_b64 s[46:47], s[42:43], s[46:47]             // inBounds & must try again

/* or masks to check for exit */
s_mov_b64 s[42:43], 0x0                            // empty mask
s_or_b64 s[42:43], s[46:47], s[42:43]              // or to add threads
s_or_saveexec_b64 s[44:45], s[42:43]               // apply combined mask
s_cbranch_execz label_0280                         // if exec is zero skip loop

/* atomic CAS loop */
label_0279:

/* apply updated masks and issue writes again */
s_mov_b64 exec, s[46:47]                           // must try again
v_mov_b32 v10, v8                                  // dataV+2 = tmp (new original C)
v_mov_b32 v11, v9                                  // dataV+3 = tmp (new original C)
v_add_f64 v[8:9], v[10:11], v[vgprValuC+12:vgprValuC+12+1] // newC = rC + originalC
_buffer_atomic_cmpswap_b64 v[8:11], v6, s[sgprSrdD:sgprSrdD+3] 0 offen offset:0 glc   // attempt write
s_waitcnt vmcnt(0)                                 // wait for atomic writes

/* apply masks and check for success */
s_mov_b64 exec, s[46:47]                           // must try again
v_cmp_ne_u64 s[42:43], v[8:9], v[10:11]            // c read during atomic != c read during prior load
s_and_b64 s[46:47], s[42:43], s[46:47]             // inBounds & must try again

/* or masks to check for exit */
s_mov_b64 s[42:43], 0x0                            // empty mask
s_or_b64 s[42:43], s[46:47], s[42:43]              // or to add threads
s_or_saveexec_b64 s[44:45], s[42:43]               // apply combined mask
s_cbranch_execnz label_0279                        // try again if not complete
label_0280:
s_mov_b64 exec, -1                                 // full mask -> exec
s_nop 0                                            // 1 wait state required when next inst writes vgprs held by previous dwordx4 store inst
/* optSingleColVgpr=0 optSharedColVgpr=0 optSGPRUsage=None optSrdIncForRow=0 */

/******************************************/
/* Global Write Alpha Edge Batch #55 (d1,d0,vc1,vc0) = */
/*    (13,1,0,1:vw1:vaw:1)                */
/******************************************/

/* calc coords, apply mask, and issue loads (if necessary) */
/* (d1,vc1,d0,vc0)=(13,0,1,1) */
s_mov_b32 s42, 65                                  // coordOffset0 d0=1 vc0=1
_v_add_co_u32 v4, vcc, v0, s42                     // coord0.2: coord0 += d0*sg0*VW + vc0
v_cmp_lt_u32 s[42:43], v4, s[sgprSizeI]            // coord0 < size0
v_cmp_lt_u32 s[46:47], v1, s[sgprSizeJ]            // coord1 < size1
s_and_b64 s[46:47], s[42:43], s[46:47]             // in0 && in1
_v_add_lshl_u32 v6, v3, v4, 0x3                    // scaleToBpe: accumulate d0 lower and *= bpe into Cin addr
v_cndmask_b32 v6, -1, v6, s[46:47]                 // LDD clip if OOB. offset
_buffer_load_b64 v[10:11], v6, s[sgprSrdD:sgprSrdD+3], 0, offen offset:0 // load D (atomic) bpm=8 vaw=1
v_accvgpr_read_b32 v[vgprValuC+12], acc122 // copy acc to vreg[110]
v_accvgpr_read_b32 v[vgprValuC+13], acc123 // copy acc to vreg[111]
s_nop 1                                            // 2 wait states required before reading vgpr

/* rC *= alpha batchElements=[(13, 1, 0, 1)] */
v_mul_f64 v[vgprValuC+12:vgprValuC+12+1], s[sgprAlpha:sgprAlpha+1], v[vgprValuC+12:vgprValuC+12+1] // *= alpha
s_waitcnt vmcnt(0)                                 // wait C (atomic)

/* issue first atomic writes */
s_mov_b64 exec, s[46:47]                           // sgprs -> exec (before atomic)
v_add_f64 v[8:9], v[10:11], v[vgprValuC+12:vgprValuC+12+1] // desired value
_buffer_atomic_cmpswap_b64 v[8:11], v6, s[sgprSrdD:sgprSrdD+3] 0 offen offset:0 glc   // attempt write
s_waitcnt vmcnt(0)                                 // wait for atomic writes

/* check success of writes, update masks */
s_mov_b64 exec, s[46:47]                           // sgprs -> exec
v_cmp_ne_u64 s[42:43], v[8:9], v[10:11]            // c read during atomic != c read during prior load
s_and_b64 s[46:47], s[42:43], s[46:47]             // inBounds & must try again

/* or masks to check for exit */
s_mov_b64 s[42:43], 0x0                            // empty mask
s_or_b64 s[42:43], s[46:47], s[42:43]              // or to add threads
s_or_saveexec_b64 s[44:45], s[42:43]               // apply combined mask
s_cbranch_execz label_0282                         // if exec is zero skip loop

/* atomic CAS loop */
label_0281:

/* apply updated masks and issue writes again */
s_mov_b64 exec, s[46:47]                           // must try again
v_mov_b32 v10, v8                                  // dataV+2 = tmp (new original C)
v_mov_b32 v11, v9                                  // dataV+3 = tmp (new original C)
v_add_f64 v[8:9], v[10:11], v[vgprValuC+12:vgprValuC+12+1] // newC = rC + originalC
_buffer_atomic_cmpswap_b64 v[8:11], v6, s[sgprSrdD:sgprSrdD+3] 0 offen offset:0 glc   // attempt write
s_waitcnt vmcnt(0)                                 // wait for atomic writes

/* apply masks and check for success */
s_mov_b64 exec, s[46:47]                           // must try again
v_cmp_ne_u64 s[42:43], v[8:9], v[10:11]            // c read during atomic != c read during prior load
s_and_b64 s[46:47], s[42:43], s[46:47]             // inBounds & must try again

/* or masks to check for exit */
s_mov_b64 s[42:43], 0x0                            // empty mask
s_or_b64 s[42:43], s[46:47], s[42:43]              // or to add threads
s_or_saveexec_b64 s[44:45], s[42:43]               // apply combined mask
s_cbranch_execnz label_0281                        // try again if not complete
label_0282:
s_mov_b64 exec, -1                                 // full mask -> exec
s_nop 0                                            // 1 wait state required when next inst writes vgprs held by previous dwordx4 store inst
/* optSingleColVgpr=0 optSharedColVgpr=0 optSGPRUsage=None optSrdIncForRow=0 */

/******************************************/
/* Global Write Alpha Edge Batch #56 (d1,d0,vc1,vc0) = */
/*    (14,0,0,0:vw1:vaw:1)                */
/******************************************/

/* calc coords, apply mask, and issue loads (if necessary) */
/* (d1,vc1,d0,vc0)=(14,0,0,0) */
_v_add_co_u32 v1, vcc, v1, 4                       // coord1.1: coord1Vgpr += d1*sg1*VW + vc1

/* Fix for UseInitialStridesCD, emitAddressSetupCode */
s_mul_i32 s42, s[sgprStrideC1J], 4                 // scale stride
_v_add_u32 v2, v2, s42                             // ROWINC- Move cinRowPtr to next row
s_mul_i32 s42, s[sgprStrideD1J], 4                 // scale stride
_v_add_u32 v3, v3, s42                             // Move coutRowPtr to next row
v_cmp_lt_u32 s[42:43], v0, s[sgprSizeI]            // coord0 < size0
v_cmp_lt_u32 s[46:47], v1, s[sgprSizeJ]            // coord1 < size1
s_and_b64 s[46:47], s[42:43], s[46:47]             // in0 && in1
_v_add_lshl_u32 v6, v3, v0, 0x3                    // scaleToBpe: accumulate d0 lower and *= bpe into Cin addr
v_cndmask_b32 v6, -1, v6, s[46:47]                 // LDD clip if OOB. offset
_buffer_load_b64 v[10:11], v6, s[sgprSrdD:sgprSrdD+3], 0, offen offset:0 // load D (atomic) bpm=8 vaw=1
v_accvgpr_read_b32 v[vgprValuC+12], acc100 // copy acc to vreg[112]
v_accvgpr_read_b32 v[vgprValuC+13], acc101 // copy acc to vreg[113]
s_nop 1                                            // 2 wait states required before reading vgpr

/* rC *= alpha batchElements=[(14, 0, 0, 0)] */
v_mul_f64 v[vgprValuC+12:vgprValuC+12+1], s[sgprAlpha:sgprAlpha+1], v[vgprValuC+12:vgprValuC+12+1] // *= alpha
s_waitcnt vmcnt(0)                                 // wait C (atomic)

/* issue first atomic writes */
s_mov_b64 exec, s[46:47]                           // sgprs -> exec (before atomic)
v_add_f64 v[8:9], v[10:11], v[vgprValuC+12:vgprValuC+12+1] // desired value
_buffer_atomic_cmpswap_b64 v[8:11], v6, s[sgprSrdD:sgprSrdD+3] 0 offen offset:0 glc   // attempt write
s_waitcnt vmcnt(0)                                 // wait for atomic writes

/* check success of writes, update masks */
s_mov_b64 exec, s[46:47]                           // sgprs -> exec
v_cmp_ne_u64 s[42:43], v[8:9], v[10:11]            // c read during atomic != c read during prior load
s_and_b64 s[46:47], s[42:43], s[46:47]             // inBounds & must try again

/* or masks to check for exit */
s_mov_b64 s[42:43], 0x0                            // empty mask
s_or_b64 s[42:43], s[46:47], s[42:43]              // or to add threads
s_or_saveexec_b64 s[44:45], s[42:43]               // apply combined mask
s_cbranch_execz label_0284                         // if exec is zero skip loop

/* atomic CAS loop */
label_0283:

/* apply updated masks and issue writes again */
s_mov_b64 exec, s[46:47]                           // must try again
v_mov_b32 v10, v8                                  // dataV+2 = tmp (new original C)
v_mov_b32 v11, v9                                  // dataV+3 = tmp (new original C)
v_add_f64 v[8:9], v[10:11], v[vgprValuC+12:vgprValuC+12+1] // newC = rC + originalC
_buffer_atomic_cmpswap_b64 v[8:11], v6, s[sgprSrdD:sgprSrdD+3] 0 offen offset:0 glc   // attempt write
s_waitcnt vmcnt(0)                                 // wait for atomic writes

/* apply masks and check for success */
s_mov_b64 exec, s[46:47]                           // must try again
v_cmp_ne_u64 s[42:43], v[8:9], v[10:11]            // c read during atomic != c read during prior load
s_and_b64 s[46:47], s[42:43], s[46:47]             // inBounds & must try again

/* or masks to check for exit */
s_mov_b64 s[42:43], 0x0                            // empty mask
s_or_b64 s[42:43], s[46:47], s[42:43]              // or to add threads
s_or_saveexec_b64 s[44:45], s[42:43]               // apply combined mask
s_cbranch_execnz label_0283                        // try again if not complete
label_0284:
s_mov_b64 exec, -1                                 // full mask -> exec
s_nop 0                                            // 1 wait state required when next inst writes vgprs held by previous dwordx4 store inst
/* optSingleColVgpr=0 optSharedColVgpr=0 optSGPRUsage=None optSrdIncForRow=0 */

/******************************************/
/* Global Write Alpha Edge Batch #57 (d1,d0,vc1,vc0) = */
/*    (14,0,0,1:vw1:vaw:1)                */
/******************************************/

/* calc coords, apply mask, and issue loads (if necessary) */
/* (d1,vc1,d0,vc0)=(14,0,0,1) */
_v_add_co_u32 v4, vcc, v0, 1                       // coord0.1: coord0 += d0*sg0*VW + vc0
v_cmp_lt_u32 s[42:43], v4, s[sgprSizeI]            // coord0 < size0
v_cmp_lt_u32 s[46:47], v1, s[sgprSizeJ]            // coord1 < size1
s_and_b64 s[46:47], s[42:43], s[46:47]             // in0 && in1
_v_add_lshl_u32 v6, v3, v4, 0x3                    // scaleToBpe: accumulate d0 lower and *= bpe into Cin addr
v_cndmask_b32 v6, -1, v6, s[46:47]                 // LDD clip if OOB. offset
_buffer_load_b64 v[10:11], v6, s[sgprSrdD:sgprSrdD+3], 0, offen offset:0 // load D (atomic) bpm=8 vaw=1
v_accvgpr_read_b32 v[vgprValuC+12], acc108 // copy acc to vreg[114]
v_accvgpr_read_b32 v[vgprValuC+13], acc109 // copy acc to vreg[115]
s_nop 1                                            // 2 wait states required before reading vgpr

/* rC *= alpha batchElements=[(14, 0, 0, 1)] */
v_mul_f64 v[vgprValuC+12:vgprValuC+12+1], s[sgprAlpha:sgprAlpha+1], v[vgprValuC+12:vgprValuC+12+1] // *= alpha
s_waitcnt vmcnt(0)                                 // wait C (atomic)

/* issue first atomic writes */
s_mov_b64 exec, s[46:47]                           // sgprs -> exec (before atomic)
v_add_f64 v[8:9], v[10:11], v[vgprValuC+12:vgprValuC+12+1] // desired value
_buffer_atomic_cmpswap_b64 v[8:11], v6, s[sgprSrdD:sgprSrdD+3] 0 offen offset:0 glc   // attempt write
s_waitcnt vmcnt(0)                                 // wait for atomic writes

/* check success of writes, update masks */
s_mov_b64 exec, s[46:47]                           // sgprs -> exec
v_cmp_ne_u64 s[42:43], v[8:9], v[10:11]            // c read during atomic != c read during prior load
s_and_b64 s[46:47], s[42:43], s[46:47]             // inBounds & must try again

/* or masks to check for exit */
s_mov_b64 s[42:43], 0x0                            // empty mask
s_or_b64 s[42:43], s[46:47], s[42:43]              // or to add threads
s_or_saveexec_b64 s[44:45], s[42:43]               // apply combined mask
s_cbranch_execz label_0286                         // if exec is zero skip loop

/* atomic CAS loop */
label_0285:

/* apply updated masks and issue writes again */
s_mov_b64 exec, s[46:47]                           // must try again
v_mov_b32 v10, v8                                  // dataV+2 = tmp (new original C)
v_mov_b32 v11, v9                                  // dataV+3 = tmp (new original C)
v_add_f64 v[8:9], v[10:11], v[vgprValuC+12:vgprValuC+12+1] // newC = rC + originalC
_buffer_atomic_cmpswap_b64 v[8:11], v6, s[sgprSrdD:sgprSrdD+3] 0 offen offset:0 glc   // attempt write
s_waitcnt vmcnt(0)                                 // wait for atomic writes

/* apply masks and check for success */
s_mov_b64 exec, s[46:47]                           // must try again
v_cmp_ne_u64 s[42:43], v[8:9], v[10:11]            // c read during atomic != c read during prior load
s_and_b64 s[46:47], s[42:43], s[46:47]             // inBounds & must try again

/* or masks to check for exit */
s_mov_b64 s[42:43], 0x0                            // empty mask
s_or_b64 s[42:43], s[46:47], s[42:43]              // or to add threads
s_or_saveexec_b64 s[44:45], s[42:43]               // apply combined mask
s_cbranch_execnz label_0285                        // try again if not complete
label_0286:
s_mov_b64 exec, -1                                 // full mask -> exec
s_nop 0                                            // 1 wait state required when next inst writes vgprs held by previous dwordx4 store inst
/* optSingleColVgpr=0 optSharedColVgpr=0 optSGPRUsage=None optSrdIncForRow=0 */

/******************************************/
/* Global Write Alpha Edge Batch #58 (d1,d0,vc1,vc0) = */
/*    (14,1,0,0:vw1:vaw:1)                */
/******************************************/

/* calc coords, apply mask, and issue loads (if necessary) */
/* (d1,vc1,d0,vc0)=(14,0,1,0) */
_v_add_co_u32 v4, vcc, v0, 64                      // coord0.1: coord0 += d0*sg0*VW + vc0
v_cmp_lt_u32 s[42:43], v4, s[sgprSizeI]            // coord0 < size0
v_cmp_lt_u32 s[46:47], v1, s[sgprSizeJ]            // coord1 < size1
s_and_b64 s[46:47], s[42:43], s[46:47]             // in0 && in1
_v_add_lshl_u32 v6, v3, v4, 0x3                    // scaleToBpe: accumulate d0 lower and *= bpe into Cin addr
v_cndmask_b32 v6, -1, v6, s[46:47]                 // LDD clip if OOB. offset
_buffer_load_b64 v[10:11], v6, s[sgprSrdD:sgprSrdD+3], 0, offen offset:0 // load D (atomic) bpm=8 vaw=1
v_accvgpr_read_b32 v[vgprValuC+12], acc116 // copy acc to vreg[116]
v_accvgpr_read_b32 v[vgprValuC+13], acc117 // copy acc to vreg[117]
s_nop 1                                            // 2 wait states required before reading vgpr

/* rC *= alpha batchElements=[(14, 1, 0, 0)] */
v_mul_f64 v[vgprValuC+12:vgprValuC+12+1], s[sgprAlpha:sgprAlpha+1], v[vgprValuC+12:vgprValuC+12+1] // *= alpha
s_waitcnt vmcnt(0)                                 // wait C (atomic)

/* issue first atomic writes */
s_mov_b64 exec, s[46:47]                           // sgprs -> exec (before atomic)
v_add_f64 v[8:9], v[10:11], v[vgprValuC+12:vgprValuC+12+1] // desired value
_buffer_atomic_cmpswap_b64 v[8:11], v6, s[sgprSrdD:sgprSrdD+3] 0 offen offset:0 glc   // attempt write
s_waitcnt vmcnt(0)                                 // wait for atomic writes

/* check success of writes, update masks */
s_mov_b64 exec, s[46:47]                           // sgprs -> exec
v_cmp_ne_u64 s[42:43], v[8:9], v[10:11]            // c read during atomic != c read during prior load
s_and_b64 s[46:47], s[42:43], s[46:47]             // inBounds & must try again

/* or masks to check for exit */
s_mov_b64 s[42:43], 0x0                            // empty mask
s_or_b64 s[42:43], s[46:47], s[42:43]              // or to add threads
s_or_saveexec_b64 s[44:45], s[42:43]               // apply combined mask
s_cbranch_execz label_0288                         // if exec is zero skip loop

/* atomic CAS loop */
label_0287:

/* apply updated masks and issue writes again */
s_mov_b64 exec, s[46:47]                           // must try again
v_mov_b32 v10, v8                                  // dataV+2 = tmp (new original C)
v_mov_b32 v11, v9                                  // dataV+3 = tmp (new original C)
v_add_f64 v[8:9], v[10:11], v[vgprValuC+12:vgprValuC+12+1] // newC = rC + originalC
_buffer_atomic_cmpswap_b64 v[8:11], v6, s[sgprSrdD:sgprSrdD+3] 0 offen offset:0 glc   // attempt write
s_waitcnt vmcnt(0)                                 // wait for atomic writes

/* apply masks and check for success */
s_mov_b64 exec, s[46:47]                           // must try again
v_cmp_ne_u64 s[42:43], v[8:9], v[10:11]            // c read during atomic != c read during prior load
s_and_b64 s[46:47], s[42:43], s[46:47]             // inBounds & must try again

/* or masks to check for exit */
s_mov_b64 s[42:43], 0x0                            // empty mask
s_or_b64 s[42:43], s[46:47], s[42:43]              // or to add threads
s_or_saveexec_b64 s[44:45], s[42:43]               // apply combined mask
s_cbranch_execnz label_0287                        // try again if not complete
label_0288:
s_mov_b64 exec, -1                                 // full mask -> exec
s_nop 0                                            // 1 wait state required when next inst writes vgprs held by previous dwordx4 store inst
/* optSingleColVgpr=0 optSharedColVgpr=0 optSGPRUsage=None optSrdIncForRow=0 */

/******************************************/
/* Global Write Alpha Edge Batch #59 (d1,d0,vc1,vc0) = */
/*    (14,1,0,1:vw1:vaw:1)                */
/******************************************/

/* calc coords, apply mask, and issue loads (if necessary) */
/* (d1,vc1,d0,vc0)=(14,0,1,1) */
s_mov_b32 s42, 65                                  // coordOffset0 d0=1 vc0=1
_v_add_co_u32 v4, vcc, v0, s42                     // coord0.2: coord0 += d0*sg0*VW + vc0
v_cmp_lt_u32 s[42:43], v4, s[sgprSizeI]            // coord0 < size0
v_cmp_lt_u32 s[46:47], v1, s[sgprSizeJ]            // coord1 < size1
s_and_b64 s[46:47], s[42:43], s[46:47]             // in0 && in1
_v_add_lshl_u32 v6, v3, v4, 0x3                    // scaleToBpe: accumulate d0 lower and *= bpe into Cin addr
v_cndmask_b32 v6, -1, v6, s[46:47]                 // LDD clip if OOB. offset
_buffer_load_b64 v[10:11], v6, s[sgprSrdD:sgprSrdD+3], 0, offen offset:0 // load D (atomic) bpm=8 vaw=1
v_accvgpr_read_b32 v[vgprValuC+12], acc124 // copy acc to vreg[118]
v_accvgpr_read_b32 v[vgprValuC+13], acc125 // copy acc to vreg[119]
s_nop 1                                            // 2 wait states required before reading vgpr

/* rC *= alpha batchElements=[(14, 1, 0, 1)] */
v_mul_f64 v[vgprValuC+12:vgprValuC+12+1], s[sgprAlpha:sgprAlpha+1], v[vgprValuC+12:vgprValuC+12+1] // *= alpha
s_waitcnt vmcnt(0)                                 // wait C (atomic)

/* issue first atomic writes */
s_mov_b64 exec, s[46:47]                           // sgprs -> exec (before atomic)
v_add_f64 v[8:9], v[10:11], v[vgprValuC+12:vgprValuC+12+1] // desired value
_buffer_atomic_cmpswap_b64 v[8:11], v6, s[sgprSrdD:sgprSrdD+3] 0 offen offset:0 glc   // attempt write
s_waitcnt vmcnt(0)                                 // wait for atomic writes

/* check success of writes, update masks */
s_mov_b64 exec, s[46:47]                           // sgprs -> exec
v_cmp_ne_u64 s[42:43], v[8:9], v[10:11]            // c read during atomic != c read during prior load
s_and_b64 s[46:47], s[42:43], s[46:47]             // inBounds & must try again

/* or masks to check for exit */
s_mov_b64 s[42:43], 0x0                            // empty mask
s_or_b64 s[42:43], s[46:47], s[42:43]              // or to add threads
s_or_saveexec_b64 s[44:45], s[42:43]               // apply combined mask
s_cbranch_execz label_0290                         // if exec is zero skip loop

/* atomic CAS loop */
label_0289:

/* apply updated masks and issue writes again */
s_mov_b64 exec, s[46:47]                           // must try again
v_mov_b32 v10, v8                                  // dataV+2 = tmp (new original C)
v_mov_b32 v11, v9                                  // dataV+3 = tmp (new original C)
v_add_f64 v[8:9], v[10:11], v[vgprValuC+12:vgprValuC+12+1] // newC = rC + originalC
_buffer_atomic_cmpswap_b64 v[8:11], v6, s[sgprSrdD:sgprSrdD+3] 0 offen offset:0 glc   // attempt write
s_waitcnt vmcnt(0)                                 // wait for atomic writes

/* apply masks and check for success */
s_mov_b64 exec, s[46:47]                           // must try again
v_cmp_ne_u64 s[42:43], v[8:9], v[10:11]            // c read during atomic != c read during prior load
s_and_b64 s[46:47], s[42:43], s[46:47]             // inBounds & must try again

/* or masks to check for exit */
s_mov_b64 s[42:43], 0x0                            // empty mask
s_or_b64 s[42:43], s[46:47], s[42:43]              // or to add threads
s_or_saveexec_b64 s[44:45], s[42:43]               // apply combined mask
s_cbranch_execnz label_0289                        // try again if not complete
label_0290:
s_mov_b64 exec, -1                                 // full mask -> exec
s_nop 0                                            // 1 wait state required when next inst writes vgprs held by previous dwordx4 store inst
/* optSingleColVgpr=0 optSharedColVgpr=0 optSGPRUsage=None optSrdIncForRow=0 */

/******************************************/
/* Global Write Alpha Edge Batch #60 (d1,d0,vc1,vc0) = */
/*    (15,0,0,0:vw1:vaw:1)                */
/******************************************/

/* calc coords, apply mask, and issue loads (if necessary) */
/* (d1,vc1,d0,vc0)=(15,0,0,0) */
_v_add_co_u32 v1, vcc, v1, 4                       // coord1.1: coord1Vgpr += d1*sg1*VW + vc1

/* Fix for UseInitialStridesCD, emitAddressSetupCode */
s_mul_i32 s42, s[sgprStrideC1J], 4                 // scale stride
_v_add_u32 v2, v2, s42                             // ROWINC- Move cinRowPtr to next row
s_mul_i32 s42, s[sgprStrideD1J], 4                 // scale stride
_v_add_u32 v3, v3, s42                             // Move coutRowPtr to next row
v_cmp_lt_u32 s[42:43], v0, s[sgprSizeI]            // coord0 < size0
v_cmp_lt_u32 s[46:47], v1, s[sgprSizeJ]            // coord1 < size1
s_and_b64 s[46:47], s[42:43], s[46:47]             // in0 && in1
_v_add_lshl_u32 v6, v3, v0, 0x3                    // scaleToBpe: accumulate d0 lower and *= bpe into Cin addr
v_cndmask_b32 v6, -1, v6, s[46:47]                 // LDD clip if OOB. offset
_buffer_load_b64 v[10:11], v6, s[sgprSrdD:sgprSrdD+3], 0, offen offset:0 // load D (atomic) bpm=8 vaw=1
v_accvgpr_read_b32 v[vgprValuC+12], acc102 // copy acc to vreg[120]
v_accvgpr_read_b32 v[vgprValuC+13], acc103 // copy acc to vreg[121]
s_nop 1                                            // 2 wait states required before reading vgpr

/* rC *= alpha batchElements=[(15, 0, 0, 0)] */
v_mul_f64 v[vgprValuC+12:vgprValuC+12+1], s[sgprAlpha:sgprAlpha+1], v[vgprValuC+12:vgprValuC+12+1] // *= alpha
s_waitcnt vmcnt(0)                                 // wait C (atomic)

/* issue first atomic writes */
s_mov_b64 exec, s[46:47]                           // sgprs -> exec (before atomic)
v_add_f64 v[8:9], v[10:11], v[vgprValuC+12:vgprValuC+12+1] // desired value
_buffer_atomic_cmpswap_b64 v[8:11], v6, s[sgprSrdD:sgprSrdD+3] 0 offen offset:0 glc   // attempt write
s_waitcnt vmcnt(0)                                 // wait for atomic writes

/* check success of writes, update masks */
s_mov_b64 exec, s[46:47]                           // sgprs -> exec
v_cmp_ne_u64 s[42:43], v[8:9], v[10:11]            // c read during atomic != c read during prior load
s_and_b64 s[46:47], s[42:43], s[46:47]             // inBounds & must try again

/* or masks to check for exit */
s_mov_b64 s[42:43], 0x0                            // empty mask
s_or_b64 s[42:43], s[46:47], s[42:43]              // or to add threads
s_or_saveexec_b64 s[44:45], s[42:43]               // apply combined mask
s_cbranch_execz label_0292                         // if exec is zero skip loop

/* atomic CAS loop */
label_0291:

/* apply updated masks and issue writes again */
s_mov_b64 exec, s[46:47]                           // must try again
v_mov_b32 v10, v8                                  // dataV+2 = tmp (new original C)
v_mov_b32 v11, v9                                  // dataV+3 = tmp (new original C)
v_add_f64 v[8:9], v[10:11], v[vgprValuC+12:vgprValuC+12+1] // newC = rC + originalC
_buffer_atomic_cmpswap_b64 v[8:11], v6, s[sgprSrdD:sgprSrdD+3] 0 offen offset:0 glc   // attempt write
s_waitcnt vmcnt(0)                                 // wait for atomic writes

/* apply masks and check for success */
s_mov_b64 exec, s[46:47]                           // must try again
v_cmp_ne_u64 s[42:43], v[8:9], v[10:11]            // c read during atomic != c read during prior load
s_and_b64 s[46:47], s[42:43], s[46:47]             // inBounds & must try again

/* or masks to check for exit */
s_mov_b64 s[42:43], 0x0                            // empty mask
s_or_b64 s[42:43], s[46:47], s[42:43]              // or to add threads
s_or_saveexec_b64 s[44:45], s[42:43]               // apply combined mask
s_cbranch_execnz label_0291                        // try again if not complete
label_0292:
s_mov_b64 exec, -1                                 // full mask -> exec
s_nop 0                                            // 1 wait state required when next inst writes vgprs held by previous dwordx4 store inst
/* optSingleColVgpr=0 optSharedColVgpr=0 optSGPRUsage=None optSrdIncForRow=0 */

/******************************************/
/* Global Write Alpha Edge Batch #61 (d1,d0,vc1,vc0) = */
/*    (15,0,0,1:vw1:vaw:1)                */
/******************************************/

/* calc coords, apply mask, and issue loads (if necessary) */
/* (d1,vc1,d0,vc0)=(15,0,0,1) */
_v_add_co_u32 v4, vcc, v0, 1                       // coord0.1: coord0 += d0*sg0*VW + vc0
v_cmp_lt_u32 s[42:43], v4, s[sgprSizeI]            // coord0 < size0
v_cmp_lt_u32 s[46:47], v1, s[sgprSizeJ]            // coord1 < size1
s_and_b64 s[46:47], s[42:43], s[46:47]             // in0 && in1
_v_add_lshl_u32 v6, v3, v4, 0x3                    // scaleToBpe: accumulate d0 lower and *= bpe into Cin addr
v_cndmask_b32 v6, -1, v6, s[46:47]                 // LDD clip if OOB. offset
_buffer_load_b64 v[10:11], v6, s[sgprSrdD:sgprSrdD+3], 0, offen offset:0 // load D (atomic) bpm=8 vaw=1
v_accvgpr_read_b32 v[vgprValuC+12], acc110 // copy acc to vreg[122]
v_accvgpr_read_b32 v[vgprValuC+13], acc111 // copy acc to vreg[123]
s_nop 1                                            // 2 wait states required before reading vgpr

/* rC *= alpha batchElements=[(15, 0, 0, 1)] */
v_mul_f64 v[vgprValuC+12:vgprValuC+12+1], s[sgprAlpha:sgprAlpha+1], v[vgprValuC+12:vgprValuC+12+1] // *= alpha
s_waitcnt vmcnt(0)                                 // wait C (atomic)

/* issue first atomic writes */
s_mov_b64 exec, s[46:47]                           // sgprs -> exec (before atomic)
v_add_f64 v[8:9], v[10:11], v[vgprValuC+12:vgprValuC+12+1] // desired value
_buffer_atomic_cmpswap_b64 v[8:11], v6, s[sgprSrdD:sgprSrdD+3] 0 offen offset:0 glc   // attempt write
s_waitcnt vmcnt(0)                                 // wait for atomic writes

/* check success of writes, update masks */
s_mov_b64 exec, s[46:47]                           // sgprs -> exec
v_cmp_ne_u64 s[42:43], v[8:9], v[10:11]            // c read during atomic != c read during prior load
s_and_b64 s[46:47], s[42:43], s[46:47]             // inBounds & must try again

/* or masks to check for exit */
s_mov_b64 s[42:43], 0x0                            // empty mask
s_or_b64 s[42:43], s[46:47], s[42:43]              // or to add threads
s_or_saveexec_b64 s[44:45], s[42:43]               // apply combined mask
s_cbranch_execz label_0294                         // if exec is zero skip loop

/* atomic CAS loop */
label_0293:

/* apply updated masks and issue writes again */
s_mov_b64 exec, s[46:47]                           // must try again
v_mov_b32 v10, v8                                  // dataV+2 = tmp (new original C)
v_mov_b32 v11, v9                                  // dataV+3 = tmp (new original C)
v_add_f64 v[8:9], v[10:11], v[vgprValuC+12:vgprValuC+12+1] // newC = rC + originalC
_buffer_atomic_cmpswap_b64 v[8:11], v6, s[sgprSrdD:sgprSrdD+3] 0 offen offset:0 glc   // attempt write
s_waitcnt vmcnt(0)                                 // wait for atomic writes

/* apply masks and check for success */
s_mov_b64 exec, s[46:47]                           // must try again
v_cmp_ne_u64 s[42:43], v[8:9], v[10:11]            // c read during atomic != c read during prior load
s_and_b64 s[46:47], s[42:43], s[46:47]             // inBounds & must try again

/* or masks to check for exit */
s_mov_b64 s[42:43], 0x0                            // empty mask
s_or_b64 s[42:43], s[46:47], s[42:43]              // or to add threads
s_or_saveexec_b64 s[44:45], s[42:43]               // apply combined mask
s_cbranch_execnz label_0293                        // try again if not complete
label_0294:
s_mov_b64 exec, -1                                 // full mask -> exec
s_nop 0                                            // 1 wait state required when next inst writes vgprs held by previous dwordx4 store inst
/* optSingleColVgpr=0 optSharedColVgpr=0 optSGPRUsage=None optSrdIncForRow=0 */

/******************************************/
/* Global Write Alpha Edge Batch #62 (d1,d0,vc1,vc0) = */
/*    (15,1,0,0:vw1:vaw:1)                */
/******************************************/

/* calc coords, apply mask, and issue loads (if necessary) */
/* (d1,vc1,d0,vc0)=(15,0,1,0) */
_v_add_co_u32 v4, vcc, v0, 64                      // coord0.1: coord0 += d0*sg0*VW + vc0
v_cmp_lt_u32 s[42:43], v4, s[sgprSizeI]            // coord0 < size0
v_cmp_lt_u32 s[46:47], v1, s[sgprSizeJ]            // coord1 < size1
s_and_b64 s[46:47], s[42:43], s[46:47]             // in0 && in1
_v_add_lshl_u32 v6, v3, v4, 0x3                    // scaleToBpe: accumulate d0 lower and *= bpe into Cin addr
v_cndmask_b32 v6, -1, v6, s[46:47]                 // LDD clip if OOB. offset
_buffer_load_b64 v[10:11], v6, s[sgprSrdD:sgprSrdD+3], 0, offen offset:0 // load D (atomic) bpm=8 vaw=1
v_accvgpr_read_b32 v[vgprValuC+12], acc118 // copy acc to vreg[124]
v_accvgpr_read_b32 v[vgprValuC+13], acc119 // copy acc to vreg[125]
s_nop 1                                            // 2 wait states required before reading vgpr

/* rC *= alpha batchElements=[(15, 1, 0, 0)] */
v_mul_f64 v[vgprValuC+12:vgprValuC+12+1], s[sgprAlpha:sgprAlpha+1], v[vgprValuC+12:vgprValuC+12+1] // *= alpha
s_waitcnt vmcnt(0)                                 // wait C (atomic)

/* issue first atomic writes */
s_mov_b64 exec, s[46:47]                           // sgprs -> exec (before atomic)
v_add_f64 v[8:9], v[10:11], v[vgprValuC+12:vgprValuC+12+1] // desired value
_buffer_atomic_cmpswap_b64 v[8:11], v6, s[sgprSrdD:sgprSrdD+3] 0 offen offset:0 glc   // attempt write
s_waitcnt vmcnt(0)                                 // wait for atomic writes

/* check success of writes, update masks */
s_mov_b64 exec, s[46:47]                           // sgprs -> exec
v_cmp_ne_u64 s[42:43], v[8:9], v[10:11]            // c read during atomic != c read during prior load
s_and_b64 s[46:47], s[42:43], s[46:47]             // inBounds & must try again

/* or masks to check for exit */
s_mov_b64 s[42:43], 0x0                            // empty mask
s_or_b64 s[42:43], s[46:47], s[42:43]              // or to add threads
s_or_saveexec_b64 s[44:45], s[42:43]               // apply combined mask
s_cbranch_execz label_0296                         // if exec is zero skip loop

/* atomic CAS loop */
label_0295:

/* apply updated masks and issue writes again */
s_mov_b64 exec, s[46:47]                           // must try again
v_mov_b32 v10, v8                                  // dataV+2 = tmp (new original C)
v_mov_b32 v11, v9                                  // dataV+3 = tmp (new original C)
v_add_f64 v[8:9], v[10:11], v[vgprValuC+12:vgprValuC+12+1] // newC = rC + originalC
_buffer_atomic_cmpswap_b64 v[8:11], v6, s[sgprSrdD:sgprSrdD+3] 0 offen offset:0 glc   // attempt write
s_waitcnt vmcnt(0)                                 // wait for atomic writes

/* apply masks and check for success */
s_mov_b64 exec, s[46:47]                           // must try again
v_cmp_ne_u64 s[42:43], v[8:9], v[10:11]            // c read during atomic != c read during prior load
s_and_b64 s[46:47], s[42:43], s[46:47]             // inBounds & must try again

/* or masks to check for exit */
s_mov_b64 s[42:43], 0x0                            // empty mask
s_or_b64 s[42:43], s[46:47], s[42:43]              // or to add threads
s_or_saveexec_b64 s[44:45], s[42:43]               // apply combined mask
s_cbranch_execnz label_0295                        // try again if not complete
label_0296:
s_mov_b64 exec, -1                                 // full mask -> exec
s_nop 0                                            // 1 wait state required when next inst writes vgprs held by previous dwordx4 store inst
/* optSingleColVgpr=0 optSharedColVgpr=0 optSGPRUsage=None optSrdIncForRow=0 */

/******************************************/
/* Global Write Alpha Edge Batch #63 (d1,d0,vc1,vc0) = */
/*    (15,1,0,1:vw1:vaw:1)                */
/******************************************/

/* calc coords, apply mask, and issue loads (if necessary) */
/* (d1,vc1,d0,vc0)=(15,0,1,1) */
s_mov_b32 s42, 65                                  // coordOffset0 d0=1 vc0=1
_v_add_co_u32 v4, vcc, v0, s42                     // coord0.2: coord0 += d0*sg0*VW + vc0
v_cmp_lt_u32 s[42:43], v4, s[sgprSizeI]            // coord0 < size0
v_cmp_lt_u32 s[46:47], v1, s[sgprSizeJ]            // coord1 < size1
s_and_b64 s[46:47], s[42:43], s[46:47]             // in0 && in1
_v_add_lshl_u32 v6, v3, v4, 0x3                    // scaleToBpe: accumulate d0 lower and *= bpe into Cin addr
v_cndmask_b32 v6, -1, v6, s[46:47]                 // LDD clip if OOB. offset
_buffer_load_b64 v[10:11], v6, s[sgprSrdD:sgprSrdD+3], 0, offen offset:0 // load D (atomic) bpm=8 vaw=1
v_accvgpr_read_b32 v[vgprValuC+12], acc126 // copy acc to vreg[126]
v_accvgpr_read_b32 v[vgprValuC+13], acc127 // copy acc to vreg[127]
s_nop 1                                            // 2 wait states required before reading vgpr

/* rC *= alpha batchElements=[(15, 1, 0, 1)] */
v_mul_f64 v[vgprValuC+12:vgprValuC+12+1], s[sgprAlpha:sgprAlpha+1], v[vgprValuC+12:vgprValuC+12+1] // *= alpha
s_waitcnt vmcnt(0)                                 // wait C (atomic)

/* issue first atomic writes */
s_mov_b64 exec, s[46:47]                           // sgprs -> exec (before atomic)
v_add_f64 v[8:9], v[10:11], v[vgprValuC+12:vgprValuC+12+1] // desired value
_buffer_atomic_cmpswap_b64 v[8:11], v6, s[sgprSrdD:sgprSrdD+3] 0 offen offset:0 glc   // attempt write
s_waitcnt vmcnt(0)                                 // wait for atomic writes

/* check success of writes, update masks */
s_mov_b64 exec, s[46:47]                           // sgprs -> exec
v_cmp_ne_u64 s[42:43], v[8:9], v[10:11]            // c read during atomic != c read during prior load
s_and_b64 s[46:47], s[42:43], s[46:47]             // inBounds & must try again

/* or masks to check for exit */
s_mov_b64 s[42:43], 0x0                            // empty mask
s_or_b64 s[42:43], s[46:47], s[42:43]              // or to add threads
s_or_saveexec_b64 s[44:45], s[42:43]               // apply combined mask
s_cbranch_execz label_0298                         // if exec is zero skip loop

/* atomic CAS loop */
label_0297:

/* apply updated masks and issue writes again */
s_mov_b64 exec, s[46:47]                           // must try again
v_mov_b32 v10, v8                                  // dataV+2 = tmp (new original C)
v_mov_b32 v11, v9                                  // dataV+3 = tmp (new original C)
v_add_f64 v[8:9], v[10:11], v[vgprValuC+12:vgprValuC+12+1] // newC = rC + originalC
_buffer_atomic_cmpswap_b64 v[8:11], v6, s[sgprSrdD:sgprSrdD+3] 0 offen offset:0 glc   // attempt write
s_waitcnt vmcnt(0)                                 // wait for atomic writes

/* apply masks and check for success */
s_mov_b64 exec, s[46:47]                           // must try again
v_cmp_ne_u64 s[42:43], v[8:9], v[10:11]            // c read during atomic != c read during prior load
s_and_b64 s[46:47], s[42:43], s[46:47]             // inBounds & must try again

/* or masks to check for exit */
s_mov_b64 s[42:43], 0x0                            // empty mask
s_or_b64 s[42:43], s[46:47], s[42:43]              // or to add threads
s_or_saveexec_b64 s[44:45], s[42:43]               // apply combined mask
s_cbranch_execnz label_0297                        // try again if not complete
label_0298:
s_mov_b64 exec, -1                                 // full mask -> exec
s_nop 0                                            // 1 wait state required when next inst writes vgprs held by previous dwordx4 store inst
s_branch label_GW_End_38                           // jump to end
label_GW_End_38:

label_0299:  /// KernelEnd
s_endpgm                                           // Kernel End

